;; amdgpu-corpus repo=ROCm/rocFFT kind=compiled arch=gfx1030 opt=O3
	.text
	.amdgcn_target "amdgcn-amd-amdhsa--gfx1030"
	.amdhsa_code_object_version 6
	.protected	bluestein_single_back_len1248_dim1_half_op_CI_CI ; -- Begin function bluestein_single_back_len1248_dim1_half_op_CI_CI
	.globl	bluestein_single_back_len1248_dim1_half_op_CI_CI
	.p2align	8
	.type	bluestein_single_back_len1248_dim1_half_op_CI_CI,@function
bluestein_single_back_len1248_dim1_half_op_CI_CI: ; @bluestein_single_back_len1248_dim1_half_op_CI_CI
; %bb.0:
	s_load_dwordx4 s[16:19], s[4:5], 0x28
	v_mul_u32_u24_e32 v1, 0x4ed, v0
	v_mov_b32_e32 v13, 0
	s_mov_b32 s0, exec_lo
	v_lshrrev_b32_e32 v1, 16, v1
	v_add_nc_u32_e32 v12, s6, v1
	s_waitcnt lgkmcnt(0)
	v_cmpx_gt_u64_e64 s[16:17], v[12:13]
	s_cbranch_execz .LBB0_10
; %bb.1:
	s_clause 0x1
	s_load_dwordx4 s[0:3], s[4:5], 0x18
	s_load_dwordx4 s[12:15], s[4:5], 0x0
	v_mul_lo_u16 v1, v1, 52
	v_sub_nc_u16 v0, v0, v1
	v_and_b32_e32 v71, 0xffff, v0
	v_or_b32_e32 v61, 0x340, v71
	v_lshlrev_b32_e32 v68, 2, v71
	v_add_co_u32 v91, null, v71, 52
	s_waitcnt lgkmcnt(0)
	s_load_dwordx4 s[8:11], s[0:1], 0x0
	v_lshlrev_b32_e32 v37, 2, v61
	v_add_co_u32 v23, s0, s12, v68
	v_add_co_ci_u32_e64 v24, null, s13, 0, s0
	s_clause 0x2
	global_load_dword v75, v68, s[12:13]
	global_load_dword v73, v68, s[12:13] offset:208
	global_load_dword v70, v68, s[12:13] offset:416
	v_add_co_u32 v1, vcc_lo, 0x800, v23
	v_add_co_ci_u32_e32 v2, vcc_lo, 0, v24, vcc_lo
	s_clause 0x2
	global_load_dword v64, v37, s[12:13]
	global_load_dword v74, v[1:2], off offset:448
	global_load_dword v72, v[1:2], off offset:656
	v_add_co_u32 v92, null, 0x68, v71
	v_add_co_u32 v93, null, 0x9c, v71
	;; [unrolled: 1-line block ×3, first 2 shown]
	s_waitcnt lgkmcnt(0)
	v_mad_u64_u32 v[3:4], null, s10, v12, 0
	v_mad_u64_u32 v[5:6], null, s8, v71, 0
	;; [unrolled: 1-line block ×3, first 2 shown]
	s_mul_i32 s1, s9, 0x9c0
	s_mul_hi_u32 s7, s8, 0x9c0
	s_mul_i32 s0, s8, 0x9c0
	s_add_i32 s1, s7, s1
	v_mad_u64_u32 v[9:10], null, s11, v12, v[4:5]
	v_mov_b32_e32 v4, v8
	v_mad_u64_u32 v[10:11], null, s9, v71, v[6:7]
	s_mul_hi_u32 s11, s8, 0xfffff710
	s_mul_i32 s10, s9, 0xfffff710
	v_mad_u64_u32 v[13:14], null, s9, v61, v[4:5]
	v_mov_b32_e32 v4, v9
	s_mul_i32 s6, s8, 0xfffff710
	v_mov_b32_e32 v6, v10
	s_sub_i32 s11, s11, s8
	v_add_co_u32 v116, null, 0x104, v71
	v_lshlrev_b64 v[3:4], 2, v[3:4]
	v_mov_b32_e32 v8, v13
	v_lshlrev_b64 v[5:6], 2, v[5:6]
	s_add_i32 s7, s11, s10
	v_add_co_u32 v113, null, 0x138, v71
	v_add_co_u32 v9, vcc_lo, s18, v3
	v_add_co_ci_u32_e32 v10, vcc_lo, s19, v4, vcc_lo
	v_lshlrev_b64 v[3:4], 2, v[7:8]
	v_add_co_u32 v5, vcc_lo, v9, v5
	v_add_co_ci_u32_e32 v6, vcc_lo, v10, v6, vcc_lo
	v_add_co_u32 v114, null, 0x16c, v71
	v_add_co_u32 v3, vcc_lo, v9, v3
	v_add_co_ci_u32_e32 v4, vcc_lo, v10, v4, vcc_lo
	v_add_co_u32 v7, vcc_lo, v5, s0
	v_add_co_ci_u32_e32 v8, vcc_lo, s1, v6, vcc_lo
	global_load_dword v16, v[5:6], off
	v_add_co_u32 v97, null, 0x1a0, v71
	s_clause 0x1
	global_load_dword v15, v[7:8], off
	global_load_dword v14, v[3:4], off
	v_add_co_u32 v5, vcc_lo, v7, s6
	v_add_co_ci_u32_e32 v6, vcc_lo, s7, v8, vcc_lo
	v_add_co_u32 v99, null, 0x1d4, v71
	v_add_co_u32 v3, vcc_lo, v5, s0
	v_add_co_ci_u32_e32 v4, vcc_lo, s1, v6, vcc_lo
	global_load_dword v10, v[5:6], off
	v_add_co_u32 v7, vcc_lo, v3, s6
	global_load_dword v11, v[3:4], off
	v_add_co_ci_u32_e32 v8, vcc_lo, s7, v4, vcc_lo
	v_add_co_u32 v5, vcc_lo, v7, s0
	v_add_co_u32 v100, null, 0x208, v71
	v_add_co_ci_u32_e32 v6, vcc_lo, s1, v8, vcc_lo
	v_add_co_u32 v17, vcc_lo, v5, s6
	global_load_dword v7, v[7:8], off
	v_add_co_ci_u32_e32 v18, vcc_lo, s7, v6, vcc_lo
	global_load_dword v6, v[5:6], off
	v_add_co_u32 v3, vcc_lo, v17, s0
	v_add_co_ci_u32_e32 v4, vcc_lo, s1, v18, vcc_lo
	global_load_dword v69, v[1:2], off offset:864
	global_load_dword v13, v[17:18], off
	global_load_dword v67, v68, s[12:13] offset:624
	v_add_co_u32 v19, vcc_lo, v3, s6
	v_add_co_ci_u32_e32 v20, vcc_lo, s7, v4, vcc_lo
	global_load_dword v66, v[1:2], off offset:1072
	global_load_dword v8, v[3:4], off
	global_load_dword v9, v[19:20], off
	s_clause 0x3
	global_load_dword v65, v68, s[12:13] offset:832
	global_load_dword v63, v68, s[12:13] offset:1040
	;; [unrolled: 1-line block ×4, first 2 shown]
	v_mad_u64_u32 v[21:22], null, 0xd0, s8, v[19:20]
	global_load_dword v62, v[1:2], off offset:1488
	v_add_nc_u32_e32 v19, 0xa00, v68
	v_add_co_u32 v101, null, 0x23c, v71
	v_lshlrev_b32_e32 v45, 3, v91
	v_lshlrev_b32_e32 v44, 3, v92
	v_mov_b32_e32 v5, v22
	v_lshlrev_b32_e32 v43, 3, v93
	v_lshlrev_b32_e32 v42, 3, v115
	;; [unrolled: 1-line block ×7, first 2 shown]
	s_waitcnt vmcnt(16)
	v_lshrrev_b32_e32 v47, 16, v15
	s_waitcnt vmcnt(15)
	v_lshrrev_b32_e32 v36, 16, v14
	v_mul_f16_sdwa v48, v74, v15 dst_sel:DWORD dst_unused:UNUSED_PAD src0_sel:WORD_1 src1_sel:DWORD
	s_waitcnt vmcnt(11)
	v_mad_u64_u32 v[3:4], null, 0xd0, s9, v[5:6]
	v_add_nc_u32_e32 v5, 0x400, v68
	v_mov_b32_e32 v22, v3
	v_add_co_u32 v3, vcc_lo, v21, s0
	v_add_co_ci_u32_e32 v4, vcc_lo, s1, v22, vcc_lo
	v_add_co_u32 v17, vcc_lo, v3, s6
	global_load_dword v22, v[21:22], off
	v_add_co_ci_u32_e32 v18, vcc_lo, s7, v4, vcc_lo
	global_load_dword v20, v[3:4], off
	v_add_co_u32 v3, vcc_lo, v17, s0
	v_add_co_ci_u32_e32 v4, vcc_lo, s1, v18, vcc_lo
	global_load_dword v18, v[17:18], off
	v_add_co_u32 v26, vcc_lo, v3, s6
	v_add_co_ci_u32_e32 v27, vcc_lo, s7, v4, vcc_lo
	v_add_co_u32 v34, vcc_lo, 0x1000, v23
	v_add_co_ci_u32_e32 v35, vcc_lo, 0, v24, vcc_lo
	global_load_dword v25, v[3:4], off
	global_load_dword v59, v[1:2], off offset:1696
	global_load_dword v24, v[26:27], off
	v_add_co_u32 v3, vcc_lo, v26, s0
	v_add_co_ci_u32_e32 v4, vcc_lo, s1, v27, vcc_lo
	global_load_dword v57, v[1:2], off offset:1904
	v_add_co_u32 v26, vcc_lo, v3, s6
	v_add_co_ci_u32_e32 v27, vcc_lo, s7, v4, vcc_lo
	global_load_dword v23, v[3:4], off
	v_add_co_u32 v3, vcc_lo, v26, s0
	v_add_co_ci_u32_e32 v4, vcc_lo, s1, v27, vcc_lo
	s_clause 0x1
	global_load_dword v56, v68, s[12:13] offset:1664
	global_load_dword v54, v68, s[12:13] offset:1872
	global_load_dword v26, v[26:27], off
	s_clause 0x1
	global_load_dword v55, v[34:35], off offset:64
	global_load_dword v53, v[34:35], off offset:272
	global_load_dword v27, v[3:4], off
	v_add_co_u32 v3, vcc_lo, v3, s6
	v_add_co_ci_u32_e32 v4, vcc_lo, s7, v4, vcc_lo
	global_load_dword v52, v[1:2], off offset:32
	v_add_co_u32 v30, vcc_lo, v3, s0
	v_add_co_ci_u32_e32 v31, vcc_lo, s1, v4, vcc_lo
	global_load_dword v29, v[3:4], off
	v_add_co_u32 v3, vcc_lo, v30, s6
	v_add_co_ci_u32_e32 v4, vcc_lo, s7, v31, vcc_lo
	global_load_dword v28, v[30:31], off
	;; [unrolled: 3-line block ×4, first 2 shown]
	v_add_co_u32 v38, vcc_lo, v3, s0
	v_add_co_ci_u32_e32 v39, vcc_lo, s1, v4, vcc_lo
	global_load_dword v51, v[34:35], off offset:480
	global_load_dword v32, v[3:4], off
	global_load_dword v33, v[38:39], off
	s_clause 0x1
	global_load_dword v50, v[1:2], off offset:240
	global_load_dword v49, v[34:35], off offset:688
	v_lshrrev_b32_e32 v34, 16, v16
	v_mul_f16_sdwa v35, v75, v16 dst_sel:DWORD dst_unused:UNUSED_PAD src0_sel:WORD_1 src1_sel:DWORD
	v_mul_f16_sdwa v39, v64, v14 dst_sel:DWORD dst_unused:UNUSED_PAD src0_sel:WORD_1 src1_sel:DWORD
	v_add_nc_u32_e32 v3, 0x800, v68
	v_add_nc_u32_e32 v2, 0xc00, v68
	v_mul_f16_sdwa v46, v75, v34 dst_sel:DWORD dst_unused:UNUSED_PAD src0_sel:WORD_1 src1_sel:DWORD
	v_fma_f16 v34, v75, v34, -v35
	v_fma_f16 v35, v64, v36, -v39
	v_mul_f16_sdwa v36, v64, v36 dst_sel:DWORD dst_unused:UNUSED_PAD src0_sel:WORD_1 src1_sel:DWORD
	v_mul_f16_sdwa v39, v74, v47 dst_sel:DWORD dst_unused:UNUSED_PAD src0_sel:WORD_1 src1_sel:DWORD
	v_fmac_f16_e32 v46, v75, v16
	v_fma_f16 v16, v74, v47, -v48
	v_lshrrev_b32_e32 v47, 16, v10
	v_mul_f16_sdwa v48, v73, v10 dst_sel:DWORD dst_unused:UNUSED_PAD src0_sel:WORD_1 src1_sel:DWORD
	v_fmac_f16_e32 v36, v64, v14
	v_pack_b32_f16 v14, v46, v34
	v_fmac_f16_e32 v39, v74, v15
	v_mul_f16_sdwa v15, v73, v47 dst_sel:DWORD dst_unused:UNUSED_PAD src0_sel:WORD_1 src1_sel:DWORD
	v_lshrrev_b32_e32 v46, 16, v11
	v_fma_f16 v34, v73, v47, -v48
	v_mul_f16_sdwa v47, v72, v11 dst_sel:DWORD dst_unused:UNUSED_PAD src0_sel:WORD_1 src1_sel:DWORD
	v_pack_b32_f16 v16, v39, v16
	v_fmac_f16_e32 v15, v73, v10
	v_mul_f16_sdwa v10, v72, v46 dst_sel:DWORD dst_unused:UNUSED_PAD src0_sel:WORD_1 src1_sel:DWORD
	v_lshrrev_b32_e32 v39, 16, v7
	v_pack_b32_f16 v35, v36, v35
	v_fma_f16 v36, v72, v46, -v47
	v_mul_f16_sdwa v46, v70, v7 dst_sel:DWORD dst_unused:UNUSED_PAD src0_sel:WORD_1 src1_sel:DWORD
	v_pack_b32_f16 v15, v15, v34
	v_fmac_f16_e32 v10, v72, v11
	v_mul_f16_sdwa v11, v70, v39 dst_sel:DWORD dst_unused:UNUSED_PAD src0_sel:WORD_1 src1_sel:DWORD
	v_lshrrev_b32_e32 v34, 16, v6
	ds_write_b32 v68, v16 offset:2496
	v_fma_f16 v16, v70, v39, -v46
	ds_write2_b32 v68, v14, v15 offset1:52
	v_fmac_f16_e32 v11, v70, v7
	s_waitcnt vmcnt(34)
	v_mul_f16_sdwa v7, v69, v34 dst_sel:DWORD dst_unused:UNUSED_PAD src0_sel:WORD_1 src1_sel:DWORD
	s_waitcnt vmcnt(33)
	v_lshrrev_b32_e32 v14, 16, v13
	v_mul_f16_sdwa v39, v69, v6 dst_sel:DWORD dst_unused:UNUSED_PAD src0_sel:WORD_1 src1_sel:DWORD
	v_pack_b32_f16 v10, v10, v36
	s_waitcnt vmcnt(32)
	v_mul_f16_sdwa v15, v67, v13 dst_sel:DWORD dst_unused:UNUSED_PAD src0_sel:WORD_1 src1_sel:DWORD
	v_pack_b32_f16 v11, v11, v16
	v_fmac_f16_e32 v7, v69, v6
	v_mul_f16_sdwa v6, v67, v14 dst_sel:DWORD dst_unused:UNUSED_PAD src0_sel:WORD_1 src1_sel:DWORD
	s_waitcnt vmcnt(30)
	v_lshrrev_b32_e32 v16, 16, v8
	v_mul_f16_sdwa v36, v66, v8 dst_sel:DWORD dst_unused:UNUSED_PAD src0_sel:WORD_1 src1_sel:DWORD
	v_fma_f16 v34, v69, v34, -v39
	v_fma_f16 v14, v67, v14, -v15
	s_waitcnt vmcnt(29)
	v_lshrrev_b32_e32 v15, 16, v9
	v_fmac_f16_e32 v6, v67, v13
	v_fma_f16 v13, v66, v16, -v36
	v_mul_f16_sdwa v16, v66, v16 dst_sel:DWORD dst_unused:UNUSED_PAD src0_sel:WORD_1 src1_sel:DWORD
	v_pack_b32_f16 v7, v7, v34
	s_waitcnt vmcnt(28)
	v_mul_f16_sdwa v36, v65, v15 dst_sel:DWORD dst_unused:UNUSED_PAD src0_sel:WORD_1 src1_sel:DWORD
	v_pack_b32_f16 v6, v6, v14
	v_mul_f16_sdwa v34, v65, v9 dst_sel:DWORD dst_unused:UNUSED_PAD src0_sel:WORD_1 src1_sel:DWORD
	v_fmac_f16_e32 v16, v66, v8
	ds_write2_b32 v3, v10, v7 offset0:164 offset1:216
	v_fmac_f16_e32 v36, v65, v9
	ds_write2_b32 v68, v11, v6 offset0:104 offset1:156
	v_fma_f16 v7, v65, v15, -v34
	v_pack_b32_f16 v6, v16, v13
	v_add_nc_u32_e32 v4, 0x200, v68
	v_add_nc_u32_e32 v1, 0xe00, v68
	;; [unrolled: 1-line block ×3, first 2 shown]
	v_pack_b32_f16 v7, v36, v7
	ds_write2_b32 v2, v6, v35 offset0:12 offset1:64
	s_load_dwordx4 s[8:11], s[2:3], 0x0
	v_and_b32_e32 v21, 1, v71
	v_lshlrev_b32_e32 v38, 3, v71
	v_lshlrev_b32_e32 v48, 3, v99
	;; [unrolled: 1-line block ×4, first 2 shown]
	s_load_dwordx2 s[2:3], s[4:5], 0x38
	v_cmp_gt_u16_e32 vcc_lo, 44, v0
	s_waitcnt vmcnt(23)
	v_lshrrev_b32_e32 v8, 16, v22
	v_mul_f16_sdwa v9, v63, v22 dst_sel:DWORD dst_unused:UNUSED_PAD src0_sel:WORD_1 src1_sel:DWORD
	s_waitcnt vmcnt(22)
	v_lshrrev_b32_e32 v11, 16, v20
	v_mul_f16_sdwa v10, v63, v8 dst_sel:DWORD dst_unused:UNUSED_PAD src0_sel:WORD_1 src1_sel:DWORD
	v_fma_f16 v6, v63, v8, -v9
	v_mul_f16_sdwa v8, v62, v20 dst_sel:DWORD dst_unused:UNUSED_PAD src0_sel:WORD_1 src1_sel:DWORD
	v_mul_f16_sdwa v9, v62, v11 dst_sel:DWORD dst_unused:UNUSED_PAD src0_sel:WORD_1 src1_sel:DWORD
	s_waitcnt vmcnt(21)
	v_lshrrev_b32_e32 v13, 16, v18
	v_fmac_f16_e32 v10, v63, v22
	v_mul_f16_sdwa v14, v60, v18 dst_sel:DWORD dst_unused:UNUSED_PAD src0_sel:WORD_1 src1_sel:DWORD
	v_fma_f16 v8, v62, v11, -v8
	v_fmac_f16_e32 v9, v62, v20
	v_pack_b32_f16 v6, v10, v6
	v_mul_f16_sdwa v10, v60, v13 dst_sel:DWORD dst_unused:UNUSED_PAD src0_sel:WORD_1 src1_sel:DWORD
	v_fma_f16 v11, v60, v13, -v14
	s_waitcnt vmcnt(20)
	v_lshrrev_b32_e32 v13, 16, v25
	s_waitcnt vmcnt(19)
	v_mul_f16_sdwa v14, v59, v25 dst_sel:DWORD dst_unused:UNUSED_PAD src0_sel:WORD_1 src1_sel:DWORD
	ds_write2_b32 v4, v7, v6 offset0:80 offset1:132
	v_pack_b32_f16 v6, v9, v8
	v_fmac_f16_e32 v10, v60, v18
	v_mul_f16_sdwa v7, v59, v13 dst_sel:DWORD dst_unused:UNUSED_PAD src0_sel:WORD_1 src1_sel:DWORD
	s_waitcnt vmcnt(18)
	v_lshrrev_b32_e32 v8, 16, v24
	v_fma_f16 v9, v59, v13, -v14
	v_mul_f16_sdwa v13, v58, v24 dst_sel:DWORD dst_unused:UNUSED_PAD src0_sel:WORD_1 src1_sel:DWORD
	v_pack_b32_f16 v10, v10, v11
	v_fmac_f16_e32 v7, v59, v25
	v_mul_f16_sdwa v11, v58, v8 dst_sel:DWORD dst_unused:UNUSED_PAD src0_sel:WORD_1 src1_sel:DWORD
	s_waitcnt vmcnt(16)
	v_lshrrev_b32_e32 v14, 16, v23
	v_mul_f16_sdwa v15, v57, v23 dst_sel:DWORD dst_unused:UNUSED_PAD src0_sel:WORD_1 src1_sel:DWORD
	v_fma_f16 v8, v58, v8, -v13
	v_pack_b32_f16 v7, v7, v9
	v_fmac_f16_e32 v11, v58, v24
	v_mul_f16_sdwa v9, v57, v14 dst_sel:DWORD dst_unused:UNUSED_PAD src0_sel:WORD_1 src1_sel:DWORD
	v_fma_f16 v13, v57, v14, -v15
	s_waitcnt vmcnt(13)
	v_lshrrev_b32_e32 v14, 16, v26
	v_mul_f16_sdwa v15, v56, v26 dst_sel:DWORD dst_unused:UNUSED_PAD src0_sel:WORD_1 src1_sel:DWORD
	ds_write2_b32 v2, v6, v7 offset0:116 offset1:168
	v_pack_b32_f16 v6, v11, v8
	v_fmac_f16_e32 v9, v57, v23
	v_mul_f16_sdwa v7, v56, v14 dst_sel:DWORD dst_unused:UNUSED_PAD src0_sel:WORD_1 src1_sel:DWORD
	s_waitcnt vmcnt(10)
	v_lshrrev_b32_e32 v11, 16, v27
	v_fma_f16 v8, v56, v14, -v15
	v_mul_f16_sdwa v14, v55, v27 dst_sel:DWORD dst_unused:UNUSED_PAD src0_sel:WORD_1 src1_sel:DWORD
	ds_write2_b32 v5, v10, v6 offset0:56 offset1:108
	v_pack_b32_f16 v6, v9, v13
	v_fmac_f16_e32 v7, v56, v26
	v_mul_f16_sdwa v9, v55, v11 dst_sel:DWORD dst_unused:UNUSED_PAD src0_sel:WORD_1 src1_sel:DWORD
	s_waitcnt vmcnt(8)
	v_lshrrev_b32_e32 v10, 16, v29
	v_mul_f16_sdwa v13, v54, v29 dst_sel:DWORD dst_unused:UNUSED_PAD src0_sel:WORD_1 src1_sel:DWORD
	v_fma_f16 v11, v55, v11, -v14
	v_pack_b32_f16 v7, v7, v8
	v_fmac_f16_e32 v9, v55, v27
	v_mul_f16_sdwa v8, v54, v10 dst_sel:DWORD dst_unused:UNUSED_PAD src0_sel:WORD_1 src1_sel:DWORD
	v_fma_f16 v10, v54, v10, -v13
	s_waitcnt vmcnt(7)
	v_lshrrev_b32_e32 v13, 16, v28
	v_mul_f16_sdwa v14, v53, v28 dst_sel:DWORD dst_unused:UNUSED_PAD src0_sel:WORD_1 src1_sel:DWORD
	v_pack_b32_f16 v9, v9, v11
	v_fmac_f16_e32 v8, v54, v29
	s_waitcnt vmcnt(6)
	v_lshrrev_b32_e32 v11, 16, v30
	v_mul_f16_sdwa v15, v53, v13 dst_sel:DWORD dst_unused:UNUSED_PAD src0_sel:WORD_1 src1_sel:DWORD
	v_fma_f16 v13, v53, v13, -v14
	v_mul_f16_sdwa v14, v52, v30 dst_sel:DWORD dst_unused:UNUSED_PAD src0_sel:WORD_1 src1_sel:DWORD
	s_waitcnt vmcnt(5)
	v_lshrrev_b32_e32 v16, 16, v31
	v_pack_b32_f16 v8, v8, v10
	v_mul_f16_sdwa v10, v52, v11 dst_sel:DWORD dst_unused:UNUSED_PAD src0_sel:WORD_1 src1_sel:DWORD
	s_waitcnt vmcnt(3)
	v_lshrrev_b32_e32 v18, 16, v32
	v_fma_f16 v11, v52, v11, -v14
	v_mul_f16_sdwa v14, v51, v31 dst_sel:DWORD dst_unused:UNUSED_PAD src0_sel:WORD_1 src1_sel:DWORD
	s_waitcnt vmcnt(2)
	v_lshrrev_b32_e32 v22, 16, v33
	v_mul_f16_sdwa v20, v51, v16 dst_sel:DWORD dst_unused:UNUSED_PAD src0_sel:WORD_1 src1_sel:DWORD
	s_waitcnt vmcnt(1)
	v_mul_f16_sdwa v23, v50, v18 dst_sel:DWORD dst_unused:UNUSED_PAD src0_sel:WORD_1 src1_sel:DWORD
	s_waitcnt vmcnt(0)
	v_mul_f16_sdwa v24, v49, v33 dst_sel:DWORD dst_unused:UNUSED_PAD src0_sel:WORD_1 src1_sel:DWORD
	v_fma_f16 v14, v51, v16, -v14
	v_mul_f16_sdwa v16, v50, v32 dst_sel:DWORD dst_unused:UNUSED_PAD src0_sel:WORD_1 src1_sel:DWORD
	v_mul_f16_sdwa v25, v49, v22 dst_sel:DWORD dst_unused:UNUSED_PAD src0_sel:WORD_1 src1_sel:DWORD
	v_fmac_f16_e32 v15, v53, v28
	v_fmac_f16_e32 v10, v52, v30
	;; [unrolled: 1-line block ×3, first 2 shown]
	v_fma_f16 v16, v50, v18, -v16
	v_fmac_f16_e32 v23, v50, v32
	v_fma_f16 v18, v49, v22, -v24
	v_fmac_f16_e32 v25, v49, v33
	v_pack_b32_f16 v13, v15, v13
	v_pack_b32_f16 v10, v10, v11
	;; [unrolled: 1-line block ×5, first 2 shown]
	ds_write2_b32 v1, v6, v9 offset0:92 offset1:144
	ds_write2_b32 v5, v7, v8 offset0:160 offset1:212
	;; [unrolled: 1-line block ×4, first 2 shown]
	ds_write_b32 v68, v15 offset:4784
	s_waitcnt lgkmcnt(0)
	s_barrier
	buffer_gl0_inv
	ds_read2_b32 v[6:7], v68 offset1:52
	ds_read2_b32 v[8:9], v3 offset0:112 offset1:164
	ds_read2_b32 v[10:11], v68 offset0:104 offset1:156
	;; [unrolled: 1-line block ×11, first 2 shown]
	v_lshlrev_b32_e32 v18, 2, v21
	s_waitcnt lgkmcnt(0)
	s_barrier
	buffer_gl0_inv
	v_lshlrev_b32_e32 v20, 1, v101
	v_pk_add_f16 v36, v6, v8 neg_lo:[0,1] neg_hi:[0,1]
	v_pk_add_f16 v8, v7, v9 neg_lo:[0,1] neg_hi:[0,1]
	;; [unrolled: 1-line block ×12, first 2 shown]
	v_pk_fma_f16 v35, v6, 2.0, v36 op_sel_hi:[1,0,1] neg_lo:[0,0,1] neg_hi:[0,0,1]
	v_pk_fma_f16 v7, v7, 2.0, v8 op_sel_hi:[1,0,1] neg_lo:[0,0,1] neg_hi:[0,0,1]
	;; [unrolled: 1-line block ×12, first 2 shown]
	ds_write_b64 v38, v[35:36]
	ds_write_b64 v45, v[7:8]
	;; [unrolled: 1-line block ×12, first 2 shown]
	s_waitcnt lgkmcnt(0)
	s_barrier
	buffer_gl0_inv
	global_load_dword v39, v18, s[14:15]
	v_and_or_b32 v6, 0x7c, v121, v21
	v_lshlrev_b32_e32 v7, 1, v91
	v_lshlrev_b32_e32 v8, 1, v92
	;; [unrolled: 1-line block ×10, first 2 shown]
	v_and_or_b32 v6, 0xfc, v7, v21
	v_and_or_b32 v7, 0x1fc, v8, v21
	;; [unrolled: 1-line block ×4, first 2 shown]
	v_lshlrev_b32_e32 v16, 1, v99
	v_and_or_b32 v10, 0x2fc, v11, v21
	v_and_or_b32 v11, 0x2fc, v13, v21
	;; [unrolled: 1-line block ×5, first 2 shown]
	v_lshlrev_b32_e32 v80, 2, v6
	v_lshlrev_b32_e32 v81, 2, v7
	;; [unrolled: 1-line block ×4, first 2 shown]
	ds_read2_b32 v[6:7], v3 offset0:112 offset1:164
	ds_read2_b32 v[8:9], v68 offset1:52
	v_and_or_b32 v16, 0x7fc, v16, v21
	v_and_or_b32 v20, 0x4fc, v20, v21
	v_lshlrev_b32_e32 v84, 2, v10
	v_lshlrev_b32_e32 v85, 2, v11
	;; [unrolled: 1-line block ×3, first 2 shown]
	ds_read2_b32 v[10:11], v19 offset0:88 offset1:140
	ds_read2_b32 v[14:15], v68 offset0:104 offset1:156
	v_lshlrev_b32_e32 v89, 2, v18
	ds_read2_b32 v[18:19], v2 offset0:64 offset1:116
	ds_read2_b32 v[26:27], v4 offset0:80 offset1:132
	v_lshlrev_b32_e32 v88, 2, v16
	v_lshlrev_b32_e32 v90, 2, v20
	ds_read2_b32 v[20:21], v17 offset0:16 offset1:68
	ds_read2_b32 v[22:23], v2 offset0:168 offset1:220
	;; [unrolled: 1-line block ×6, first 2 shown]
	v_lshlrev_b32_e32 v86, 2, v13
	s_waitcnt vmcnt(0) lgkmcnt(0)
	s_barrier
	buffer_gl0_inv
	v_lshrrev_b32_e32 v13, 16, v6
	v_lshrrev_b32_e32 v25, 16, v7
	;; [unrolled: 1-line block ×24, first 2 shown]
	v_mul_f16_sdwa v119, v6, v39 dst_sel:DWORD dst_unused:UNUSED_PAD src0_sel:DWORD src1_sel:WORD_1
	v_mul_f16_sdwa v120, v13, v39 dst_sel:DWORD dst_unused:UNUSED_PAD src0_sel:DWORD src1_sel:WORD_1
	;; [unrolled: 1-line block ×24, first 2 shown]
	v_fmac_f16_e32 v119, v13, v39
	v_fma_f16 v6, v6, v39, -v120
	v_fma_f16 v7, v7, v39, -v122
	v_fmac_f16_e32 v123, v25, v39
	v_fmac_f16_e32 v124, v35, v39
	v_fma_f16 v10, v10, v39, -v125
	v_fma_f16 v11, v11, v39, -v126
	v_fmac_f16_e32 v127, v76, v39
	;; [unrolled: 4-line block ×6, first 2 shown]
	v_sub_f16_e32 v35, v24, v119
	v_sub_f16_e32 v6, v8, v6
	;; [unrolled: 1-line block ×24, first 2 shown]
	v_fma_f16 v16, v24, 2.0, -v35
	v_pack_b32_f16 v24, v6, v35
	v_fma_f16 v6, v8, 2.0, -v6
	v_fma_f16 v8, v9, 2.0, -v7
	;; [unrolled: 1-line block ×4, first 2 shown]
	v_pack_b32_f16 v35, v10, v98
	v_fma_f16 v10, v14, 2.0, -v10
	v_fma_f16 v15, v15, 2.0, -v11
	v_fma_f16 v36, v95, 2.0, -v103
	v_pack_b32_f16 v7, v7, v76
	v_pack_b32_f16 v11, v11, v103
	v_fma_f16 v76, v96, 2.0, -v105
	v_fma_f16 v96, v26, 2.0, -v107
	;; [unrolled: 1-line block ×4, first 2 shown]
	v_pack_b32_f16 v102, v18, v109
	v_fma_f16 v103, v104, 2.0, -v94
	v_fma_f16 v28, v28, 2.0, -v13
	v_fma_f16 v14, v29, 2.0, -v17
	v_fma_f16 v128, v106, 2.0, -v126
	v_fma_f16 v18, v30, 2.0, -v25
	v_fma_f16 v131, v108, 2.0, -v127
	v_fma_f16 v26, v31, 2.0, -v19
	v_fma_f16 v135, v110, 2.0, -v125
	v_fma_f16 v20, v32, 2.0, -v21
	v_fma_f16 v130, v112, 2.0, -v123
	v_fma_f16 v22, v33, 2.0, -v23
	v_fma_f16 v133, v118, 2.0, -v124
	v_pack_b32_f16 v6, v6, v16
	v_pack_b32_f16 v8, v8, v9
	;; [unrolled: 1-line block ×19, first 2 shown]
	ds_write2_b32 v79, v6, v24 offset1:2
	ds_write2_b32 v80, v8, v7 offset1:2
	;; [unrolled: 1-line block ×12, first 2 shown]
	s_waitcnt lgkmcnt(0)
	s_barrier
	buffer_gl0_inv
	ds_read2_b32 v[31:32], v5 offset0:128 offset1:224
	ds_read_b32 v134, v68 offset:4608
	ds_read2_b32 v[15:16], v68 offset1:96
	ds_read2_b32 v[35:36], v4 offset0:64 offset1:160
	ds_read2_b32 v[33:34], v3 offset0:64 offset1:160
	ds_read2_b32 v[29:30], v2 offset1:96
	ds_read2_b32 v[27:28], v1 offset0:64 offset1:160
                                        ; implicit-def: $vgpr137
                                        ; implicit-def: $vgpr136
                                        ; implicit-def: $vgpr138
	s_and_saveexec_b32 s0, vcc_lo
	s_cbranch_execz .LBB0_3
; %bb.2:
	v_add_nc_u32_e32 v0, 0x600, v68
	ds_read2_b32 v[13:14], v68 offset0:52 offset1:148
	ds_read2_b32 v[17:18], v4 offset0:116 offset1:212
	;; [unrolled: 1-line block ×6, first 2 shown]
	ds_read_b32 v136, v68 offset:4816
	s_waitcnt lgkmcnt(6)
	v_lshrrev_b32_e32 v94, 16, v13
	v_lshrrev_b32_e32 v128, 16, v14
	s_waitcnt lgkmcnt(5)
	v_lshrrev_b32_e32 v126, 16, v17
	v_lshrrev_b32_e32 v131, 16, v18
	;; [unrolled: 3-line block ×6, first 2 shown]
	s_waitcnt lgkmcnt(0)
	v_lshrrev_b32_e32 v138, 16, v136
.LBB0_3:
	s_or_b32 exec_lo, exec_lo, s0
	v_and_b32_e32 v76, 3, v71
	s_waitcnt lgkmcnt(4)
	v_lshrrev_b32_e32 v152, 16, v16
	s_waitcnt lgkmcnt(3)
	v_lshrrev_b32_e32 v153, 16, v35
	;; [unrolled: 2-line block ×3, first 2 shown]
	v_lshrrev_b32_e32 v143, 16, v28
	v_mul_u32_u24_e32 v0, 12, v76
	v_lshrrev_b32_e32 v151, 16, v36
	v_lshrrev_b32_e32 v145, 16, v30
	;; [unrolled: 1-line block ×4, first 2 shown]
	v_lshlrev_b32_e32 v8, 2, v0
	v_lshrrev_b32_e32 v148, 16, v33
	v_lshrrev_b32_e32 v142, 16, v134
	;; [unrolled: 1-line block ×4, first 2 shown]
	s_clause 0x2
	global_load_dwordx4 v[4:7], v8, s[14:15] offset:8
	global_load_dwordx4 v[0:3], v8, s[14:15] offset:24
	global_load_dwordx4 v[8:11], v8, s[14:15] offset:40
	s_waitcnt vmcnt(0)
	s_barrier
	buffer_gl0_inv
	v_lshrrev_b32_e32 v91, 2, v91
	v_mul_f16_sdwa v154, v152, v4 dst_sel:DWORD dst_unused:UNUSED_PAD src0_sel:DWORD src1_sel:WORD_1
	v_mul_f16_sdwa v141, v16, v4 dst_sel:DWORD dst_unused:UNUSED_PAD src0_sel:DWORD src1_sel:WORD_1
	;; [unrolled: 1-line block ×15, first 2 shown]
	v_fmac_f16_e32 v141, v152, v4
	v_fma_f16 v152, v16, v4, -v154
	v_mul_f16_sdwa v162, v151, v6 dst_sel:DWORD dst_unused:UNUSED_PAD src0_sel:DWORD src1_sel:WORD_1
	v_mul_f16_sdwa v139, v36, v6 dst_sel:DWORD dst_unused:UNUSED_PAD src0_sel:DWORD src1_sel:WORD_1
	;; [unrolled: 1-line block ×11, first 2 shown]
	v_fma_f16 v35, v35, v5, -v161
	v_fmac_f16_e32 v140, v153, v5
	v_fmac_f16_e32 v117, v145, v8
	v_fma_f16 v145, v27, v9, -v163
	v_fmac_f16_e32 v118, v144, v9
	v_fma_f16 v144, v28, v10, -v164
	v_fma_f16 v28, v25, v7, -v168
	;; [unrolled: 1-line block ×8, first 2 shown]
	v_add_f16_e32 v14, v15, v152
	v_add_f16_sdwa v22, v15, v141 dst_sel:DWORD dst_unused:UNUSED_PAD src0_sel:WORD_1 src1_sel:DWORD
	v_mul_f16_sdwa v155, v150, v7 dst_sel:DWORD dst_unused:UNUSED_PAD src0_sel:DWORD src1_sel:WORD_1
	v_mul_f16_sdwa v132, v31, v7 dst_sel:DWORD dst_unused:UNUSED_PAD src0_sel:DWORD src1_sel:WORD_1
	v_fma_f16 v36, v36, v6, -v162
	v_fmac_f16_e32 v139, v151, v6
	v_add_f16_e32 v14, v14, v35
	v_add_f16_e32 v22, v22, v140
	v_mul_f16_sdwa v156, v149, v0 dst_sel:DWORD dst_unused:UNUSED_PAD src0_sel:DWORD src1_sel:WORD_1
	v_mul_f16_sdwa v129, v32, v0 dst_sel:DWORD dst_unused:UNUSED_PAD src0_sel:DWORD src1_sel:WORD_1
	v_mul_f16_sdwa v120, v134, v11 dst_sel:DWORD dst_unused:UNUSED_PAD src0_sel:DWORD src1_sel:WORD_1
	v_fma_f16 v31, v31, v7, -v155
	v_fmac_f16_e32 v132, v150, v7
	v_add_f16_e32 v14, v14, v36
	v_add_f16_e32 v22, v22, v139
	v_mul_f16_sdwa v157, v148, v1 dst_sel:DWORD dst_unused:UNUSED_PAD src0_sel:DWORD src1_sel:WORD_1
	v_mul_f16_sdwa v111, v33, v1 dst_sel:DWORD dst_unused:UNUSED_PAD src0_sel:DWORD src1_sel:WORD_1
	v_mul_f16_sdwa v165, v142, v11 dst_sel:DWORD dst_unused:UNUSED_PAD src0_sel:DWORD src1_sel:WORD_1
	v_mul_f16_sdwa v107, v23, v9 dst_sel:DWORD dst_unused:UNUSED_PAD src0_sel:DWORD src1_sel:WORD_1
	v_fma_f16 v32, v32, v0, -v156
	v_fmac_f16_e32 v129, v149, v0
	v_fmac_f16_e32 v120, v142, v11
	v_add_f16_e32 v14, v14, v31
	v_add_f16_e32 v22, v22, v132
	v_mul_f16_sdwa v158, v147, v2 dst_sel:DWORD dst_unused:UNUSED_PAD src0_sel:DWORD src1_sel:WORD_1
	v_mul_f16_sdwa v112, v34, v2 dst_sel:DWORD dst_unused:UNUSED_PAD src0_sel:DWORD src1_sel:WORD_1
	;; [unrolled: 1-line block ×5, first 2 shown]
	v_fma_f16 v33, v33, v1, -v157
	v_fmac_f16_e32 v111, v148, v1
	v_fmac_f16_e32 v119, v143, v10
	v_fma_f16 v134, v134, v11, -v165
	v_fmac_f16_e32 v107, v124, v9
	v_sub_f16_e32 v124, v141, v120
	v_add_f16_e32 v14, v14, v32
	v_add_f16_e32 v22, v22, v129
	v_mul_f16_sdwa v122, v29, v3 dst_sel:DWORD dst_unused:UNUSED_PAD src0_sel:DWORD src1_sel:WORD_1
	v_mul_f16_sdwa v166, v126, v5 dst_sel:DWORD dst_unused:UNUSED_PAD src0_sel:DWORD src1_sel:WORD_1
	;; [unrolled: 1-line block ×5, first 2 shown]
	v_fma_f16 v34, v34, v2, -v158
	v_fmac_f16_e32 v112, v147, v2
	v_fma_f16 v147, v29, v3, -v159
	v_fma_f16 v29, v18, v6, -v167
	v_fmac_f16_e32 v98, v127, v7
	v_fmac_f16_e32 v103, v125, v1
	;; [unrolled: 1-line block ×3, first 2 shown]
	v_fma_f16 v18, v23, v9, -v174
	v_fmac_f16_e32 v110, v128, v4
	v_add_f16_e32 v23, v152, v134
	v_sub_f16_e32 v123, v152, v134
	v_add_f16_e32 v125, v35, v144
	v_sub_f16_e32 v127, v35, v144
	v_sub_f16_e32 v128, v140, v119
	v_mul_f16_e32 v35, 0xb770, v124
	v_add_f16_e32 v14, v14, v33
	v_add_f16_e32 v22, v22, v111
	v_mul_f16_sdwa v108, v24, v10 dst_sel:DWORD dst_unused:UNUSED_PAD src0_sel:DWORD src1_sel:WORD_1
	v_mul_f16_sdwa v176, v138, v11 dst_sel:DWORD dst_unused:UNUSED_PAD src0_sel:DWORD src1_sel:WORD_1
	v_fmac_f16_e32 v122, v146, v3
	v_fma_f16 v146, v30, v8, -v160
	v_fma_f16 v30, v17, v5, -v166
	v_fmac_f16_e32 v95, v126, v5
	v_fmac_f16_e32 v104, v130, v2
	v_fma_f16 v17, v24, v10, -v175
	v_add_f16_e32 v24, v141, v120
	v_add_f16_e32 v126, v140, v119
	v_sub_f16_e32 v130, v139, v118
	v_mul_f16_e32 v140, 0xb770, v123
	v_mul_f16_e32 v150, 0xba95, v124
	;; [unrolled: 1-line block ×12, first 2 shown]
	v_fma_f16 v190, v23, 0x3b15, -v35
	v_add_f16_e32 v14, v14, v34
	v_add_f16_e32 v22, v22, v112
	v_mul_f16_sdwa v109, v136, v11 dst_sel:DWORD dst_unused:UNUSED_PAD src0_sel:DWORD src1_sel:WORD_1
	v_fmac_f16_e32 v96, v131, v6
	v_fmac_f16_e32 v106, v133, v8
	v_fma_f16 v16, v136, v11, -v176
	v_add_f16_e32 v131, v36, v145
	v_sub_f16_e32 v133, v36, v145
	v_sub_f16_e32 v136, v132, v117
	v_mul_f16_e32 v159, 0xba95, v127
	v_mul_f16_e32 v160, 0xbb7b, v128
	;; [unrolled: 1-line block ×12, first 2 shown]
	v_fmamk_f16 v191, v24, 0x3b15, v140
	v_fmac_f16_e32 v35, 0x3b15, v23
	v_fma_f16 v140, v24, 0x3b15, -v140
	v_fma_f16 v192, v23, 0x388b, -v150
	v_fmamk_f16 v193, v24, 0x388b, v151
	v_fmac_f16_e32 v150, 0x388b, v23
	v_fma_f16 v151, v24, 0x388b, -v151
	v_fma_f16 v194, v23, 0x2fb7, -v152
	;; [unrolled: 4-line block ×6, first 2 shown]
	v_add_f16_e32 v190, v15, v190
	v_add_f16_e32 v14, v14, v147
	;; [unrolled: 1-line block ×3, first 2 shown]
	v_fmac_f16_e32 v102, v135, v0
	v_fmac_f16_e32 v108, v137, v10
	;; [unrolled: 1-line block ×3, first 2 shown]
	v_add_f16_e32 v135, v139, v118
	v_add_f16_e32 v137, v31, v146
	v_sub_f16_e32 v138, v31, v146
	v_sub_f16_e32 v143, v129, v122
	v_mul_f16_e32 v169, 0xb3a8, v130
	v_mul_f16_e32 v170, 0x3b7b, v130
	;; [unrolled: 1-line block ×12, first 2 shown]
	v_fmamk_f16 v123, v126, 0x388b, v159
	v_fmac_f16_e32 v158, 0x388b, v125
	v_fma_f16 v159, v126, 0x388b, -v159
	v_fma_f16 v202, v125, 0xb5ac, -v160
	v_fmac_f16_e32 v160, 0xb5ac, v125
	v_fma_f16 v203, v125, 0xbbc4, -v162
	v_fmac_f16_e32 v162, 0xbbc4, v125
	;; [unrolled: 2-line block ×5, first 2 shown]
	v_fmamk_f16 v125, v126, 0xb5ac, v161
	v_fma_f16 v161, v126, 0xb5ac, -v161
	v_fmamk_f16 v207, v126, 0xbbc4, v163
	v_fma_f16 v163, v126, 0xbbc4, -v163
	;; [unrolled: 2-line block ×5, first 2 shown]
	v_fma_f16 v127, v131, 0x2fb7, -v168
	v_add_f16_sdwa v191, v15, v191 dst_sel:DWORD dst_unused:UNUSED_PAD src0_sel:WORD_1 src1_sel:DWORD
	v_add_f16_e32 v35, v15, v35
	v_add_f16_sdwa v140, v15, v140 dst_sel:DWORD dst_unused:UNUSED_PAD src0_sel:WORD_1 src1_sel:DWORD
	v_add_f16_e32 v192, v15, v192
	;; [unrolled: 2-line block ×12, first 2 shown]
	v_add_f16_e32 v14, v14, v146
	v_add_f16_e32 v22, v22, v117
	;; [unrolled: 1-line block ×4, first 2 shown]
	v_sub_f16_e32 v149, v32, v147
	v_mul_f16_e32 v179, 0x394e, v136
	v_mul_f16_e32 v180, 0x3770, v136
	;; [unrolled: 1-line block ×12, first 2 shown]
	v_fmac_f16_e32 v168, 0x2fb7, v131
	v_fma_f16 v211, v131, 0xbbc4, -v169
	v_fmac_f16_e32 v169, 0xbbc4, v131
	v_fma_f16 v212, v131, 0xb5ac, -v170
	;; [unrolled: 2-line block ×5, first 2 shown]
	v_fmac_f16_e32 v130, 0xb9fd, v131
	v_fmamk_f16 v36, v135, 0x2fb7, v173
	v_fma_f16 v131, v135, 0x2fb7, -v173
	v_fmamk_f16 v139, v135, 0xbbc4, v174
	v_fma_f16 v173, v135, 0xbbc4, -v174
	;; [unrolled: 2-line block ×6, first 2 shown]
	v_fma_f16 v135, v137, 0xb5ac, -v178
	v_add_f16_e32 v24, v123, v191
	v_add_f16_e32 v31, v158, v35
	;; [unrolled: 1-line block ×9, first 2 shown]
	v_mul_f16_e32 v189, 0xb94e, v149
	v_fmac_f16_e32 v178, 0xb5ac, v137
	v_fma_f16 v219, v137, 0xb9fd, -v179
	v_fmac_f16_e32 v179, 0xb9fd, v137
	v_fma_f16 v220, v137, 0x3b15, -v180
	;; [unrolled: 2-line block ×5, first 2 shown]
	v_fmac_f16_e32 v136, 0x388b, v137
	v_fmamk_f16 v137, v141, 0xb5ac, v183
	v_fma_f16 v183, v141, 0xb5ac, -v183
	v_fmamk_f16 v224, v141, 0xb9fd, v184
	v_fma_f16 v184, v141, 0xb9fd, -v184
	;; [unrolled: 2-line block ×6, first 2 shown]
	v_fma_f16 v141, v142, 0xb9fd, -v188
	v_add_f16_e32 v123, v202, v192
	v_add_f16_e32 v125, v125, v193
	;; [unrolled: 1-line block ×25, first 2 shown]
	v_fmamk_f16 v23, v148, 0xb9fd, v189
	v_mul_f16_e32 v134, 0x3bf1, v143
	v_fma_f16 v136, v148, 0xb9fd, -v189
	v_mul_f16_e32 v138, 0x3bf1, v149
	v_add_f16_e32 v151, v207, v195
	v_add_f16_e32 v153, v163, v153
	;; [unrolled: 1-line block ×11, first 2 shown]
	v_fma_f16 v24, v142, 0x2fb7, -v134
	v_add_f16_e32 v32, v136, v32
	v_fmamk_f16 v136, v148, 0x2fb7, v138
	v_mul_f16_e32 v139, 0xba95, v143
	v_add_f16_e32 v152, v162, v152
	v_add_f16_e32 v159, v208, v197
	;; [unrolled: 1-line block ×9, first 2 shown]
	v_fmac_f16_e32 v134, 0x2fb7, v142
	v_fma_f16 v35, v148, 0x2fb7, -v138
	v_add_f16_e32 v36, v136, v36
	v_fma_f16 v136, v142, 0x388b, -v139
	v_mul_f16_e32 v138, 0xba95, v149
	v_add_f16_e32 v160, v205, v198
	v_add_f16_e32 v128, v170, v152
	;; [unrolled: 1-line block ×8, first 2 shown]
	v_mul_f16_e32 v125, 0x33a8, v143
	v_add_f16_e32 v126, v136, v126
	v_fmamk_f16 v134, v148, 0x388b, v138
	v_fma_f16 v136, v148, 0x388b, -v138
	v_mul_f16_e32 v140, 0x33a8, v149
	v_add_f16_e32 v161, v209, v199
	v_add_f16_e32 v157, v167, v157
	;; [unrolled: 1-line block ×5, first 2 shown]
	v_fmac_f16_e32 v139, 0x388b, v142
	v_fma_f16 v138, v142, 0xbbc4, -v125
	v_add_f16_e32 v127, v134, v127
	v_add_f16_e32 v129, v136, v129
	v_fmamk_f16 v134, v148, 0xbbc4, v140
	v_mul_f16_e32 v136, 0x3770, v143
	v_add_f16_e32 v162, v206, v200
	v_add_f16_e32 v151, v217, v161
	;; [unrolled: 1-line block ×6, first 2 shown]
	v_fmac_f16_e32 v125, 0xbbc4, v142
	v_fma_f16 v138, v148, 0xbbc4, -v140
	v_mul_f16_e32 v139, 0x3770, v149
	v_add_f16_e32 v130, v134, v130
	v_fma_f16 v134, v142, 0x3b15, -v136
	v_add_f16_e32 v156, v166, v156
	v_add_f16_e32 v154, v215, v162
	;; [unrolled: 1-line block ×6, first 2 shown]
	v_fmamk_f16 v131, v148, 0x3b15, v139
	v_mul_f16_e32 v138, 0xbb7b, v143
	v_add_f16_e32 v132, v134, v132
	v_fma_f16 v134, v148, 0x3b15, -v139
	v_add_f16_e32 v163, v210, v201
	v_add_f16_e32 v152, v172, v156
	;; [unrolled: 1-line block ×4, first 2 shown]
	v_fma_f16 v133, v142, 0xb5ac, -v138
	v_add_f16_e32 v134, v134, v135
	v_sub_f16_e32 v135, v111, v112
	v_add_f16_e32 v31, v168, v31
	v_add_f16_e32 v155, v218, v163
	;; [unrolled: 1-line block ×3, first 2 shown]
	v_fmac_f16_e32 v136, 0x3b15, v142
	v_mul_f16_e32 v139, 0xbb7b, v149
	v_add_f16_e32 v133, v133, v137
	v_add_f16_e32 v137, v33, v34
	v_sub_f16_e32 v33, v33, v34
	v_mul_f16_e32 v34, 0xb3a8, v135
	v_add_f16_e32 v31, v178, v31
	v_add_f16_e32 v119, v228, v155
	v_fmac_f16_e32 v188, 0xb9fd, v142
	v_add_f16_e32 v118, v136, v118
	v_fmamk_f16 v136, v148, 0xb5ac, v139
	v_fmac_f16_e32 v138, 0xb5ac, v142
	v_fma_f16 v139, v148, 0xb5ac, -v139
	v_add_f16_e32 v111, v111, v112
	v_mul_f16_e32 v112, 0xb3a8, v33
	v_fma_f16 v140, v137, 0xbbc4, -v34
	v_add_f16_e32 v31, v188, v31
	v_add_f16_e32 v119, v136, v119
	;; [unrolled: 1-line block ×4, first 2 shown]
	v_fmamk_f16 v15, v111, 0xbbc4, v112
	v_add_f16_e32 v138, v140, v22
	v_mul_f16_e32 v22, 0x3770, v135
	v_fmac_f16_e32 v34, 0xbbc4, v137
	v_fma_f16 v112, v111, 0xbbc4, -v112
	v_add_f16_e32 v140, v15, v23
	v_mul_f16_e32 v15, 0x3770, v33
	v_fma_f16 v23, v137, 0x3b15, -v22
	v_add_f16_e32 v143, v34, v31
	v_mul_f16_e32 v31, 0xb94e, v135
	v_fmac_f16_e32 v22, 0x3b15, v137
	v_add_f16_e32 v144, v112, v32
	v_add_f16_e32 v141, v23, v24
	v_mul_f16_e32 v24, 0xb94e, v33
	v_fma_f16 v23, v137, 0xb9fd, -v31
	v_fmamk_f16 v32, v111, 0x3b15, v15
	v_fma_f16 v15, v111, 0x3b15, -v15
	v_add_f16_e32 v146, v22, v123
	v_fmamk_f16 v22, v111, 0xb9fd, v24
	v_add_f16_e32 v148, v23, v126
	v_fma_f16 v23, v111, 0xb9fd, -v24
	v_mul_f16_e32 v24, 0x3a95, v33
	v_add_f16_e32 v147, v15, v35
	v_mul_f16_e32 v15, 0x3a95, v135
	v_add_f16_e32 v149, v22, v127
	v_add_f16_e32 v145, v32, v36
	v_fmamk_f16 v22, v111, 0x388b, v24
	v_fmac_f16_e32 v31, 0xb9fd, v137
	v_fma_f16 v32, v137, 0x388b, -v15
	v_fmac_f16_e32 v15, 0x388b, v137
	v_add_f16_e32 v152, v23, v129
	v_add_f16_e32 v154, v22, v130
	v_mul_f16_e32 v22, 0xbb7b, v33
	v_mul_f16_e32 v23, 0xbb7b, v135
	v_add_f16_e32 v155, v15, v125
	v_add_f16_e32 v150, v31, v128
	v_fma_f16 v24, v111, 0x388b, -v24
	v_fmamk_f16 v15, v111, 0xb5ac, v22
	v_fma_f16 v31, v137, 0xb5ac, -v23
	v_fmac_f16_e32 v23, 0xb5ac, v137
	v_fma_f16 v22, v111, 0xb5ac, -v22
	v_sub_f16_e32 v159, v110, v109
	v_add_f16_e32 v131, v15, v131
	v_mul_f16_e32 v15, 0x3bf1, v33
	v_add_f16_e32 v157, v24, v117
	v_mul_f16_e32 v24, 0x3bf1, v135
	v_add_f16_e32 v171, v23, v118
	v_add_f16_e32 v172, v22, v134
	v_fmamk_f16 v22, v111, 0x2fb7, v15
	v_fma_f16 v23, v111, 0x2fb7, -v15
	v_add_f16_e32 v111, v21, v16
	v_mul_f16_e32 v15, 0xb770, v159
	v_sub_f16_e32 v129, v21, v16
	v_add_f16_e32 v135, v31, v132
	v_fma_f16 v31, v137, 0x2fb7, -v24
	v_fmac_f16_e32 v24, 0x2fb7, v137
	v_add_f16_e32 v174, v22, v119
	v_add_f16_e32 v176, v23, v136
	v_fmamk_f16 v23, v111, 0x3b15, v15
	v_add_f16_e32 v161, v110, v109
	v_mul_f16_e32 v22, 0xb770, v129
	v_sub_f16_e32 v160, v95, v108
	v_add_f16_e32 v173, v31, v133
	v_add_f16_e32 v175, v24, v124
	v_mul_f16_e32 v35, 0xba95, v159
	v_mul_f16_e32 v36, 0xba95, v129
	v_add_f16_e32 v31, v13, v23
	v_fma_f16 v24, v161, 0x3b15, -v22
	v_add_f16_e32 v124, v30, v17
	v_mul_f16_e32 v23, 0xba95, v160
	v_sub_f16_e32 v134, v30, v17
	v_add_f16_e32 v153, v32, v122
	v_fmamk_f16 v32, v111, 0x388b, v35
	v_fma_f16 v33, v161, 0x388b, -v36
	v_add_f16_e32 v34, v94, v24
	v_fmamk_f16 v117, v124, 0x388b, v23
	v_add_f16_e32 v164, v95, v108
	v_mul_f16_e32 v24, 0xba95, v134
	v_mul_f16_e32 v112, 0xbb7b, v160
	;; [unrolled: 1-line block ×3, first 2 shown]
	v_sub_f16_e32 v162, v96, v107
	v_add_f16_e32 v32, v13, v32
	v_add_f16_e32 v33, v94, v33
	;; [unrolled: 1-line block ×3, first 2 shown]
	v_fma_f16 v118, v164, 0x388b, -v24
	v_fmamk_f16 v119, v124, 0xb5ac, v112
	v_fma_f16 v122, v164, 0xb5ac, -v123
	v_add_f16_e32 v130, v29, v18
	v_mul_f16_e32 v31, 0xbbf1, v162
	v_sub_f16_e32 v137, v29, v18
	v_add_f16_e32 v34, v118, v34
	v_add_f16_e32 v118, v119, v32
	;; [unrolled: 1-line block ×3, first 2 shown]
	v_fmamk_f16 v33, v130, 0x2fb7, v31
	v_add_f16_e32 v165, v96, v107
	v_mul_f16_e32 v125, 0xb3a8, v162
	v_mul_f16_e32 v127, 0xb3a8, v137
	v_sub_f16_e32 v163, v98, v106
	v_mul_f16_e32 v32, 0xbbf1, v137
	v_add_f16_e32 v117, v33, v117
	v_fmamk_f16 v126, v130, 0xbbc4, v125
	v_fma_f16 v128, v165, 0xbbc4, -v127
	v_add_f16_e32 v132, v28, v19
	v_mul_f16_e32 v33, 0xbb7b, v163
	v_sub_f16_e32 v139, v28, v19
	v_fma_f16 v122, v165, 0x2fb7, -v32
	v_add_f16_e32 v118, v126, v118
	v_add_f16_e32 v119, v128, v119
	;; [unrolled: 1-line block ×3, first 2 shown]
	v_mul_f16_e32 v133, 0x394e, v139
	v_fmamk_f16 v126, v132, 0xb5ac, v33
	v_lshrrev_b32_e32 v128, 2, v71
	v_add_f16_e32 v136, v122, v34
	v_mul_f16_e32 v34, 0xbb7b, v139
	v_fma_f16 v156, v166, 0xb9fd, -v133
	v_add_f16_e32 v158, v126, v117
	v_mul_u32_u24_e32 v117, 52, v128
	v_sub_f16_e32 v167, v102, v105
	v_fma_f16 v142, v166, 0xb5ac, -v34
	v_add_f16_e32 v119, v156, v119
	v_sub_f16_e32 v156, v27, v20
	v_or_b32_e32 v117, v117, v76
	v_mul_f16_e32 v122, 0x394e, v163
	v_add_f16_e32 v168, v142, v136
	v_add_f16_e32 v142, v27, v20
	;; [unrolled: 1-line block ×3, first 2 shown]
	v_pack_b32_f16 v14, v14, v120
	v_mul_f16_e32 v126, 0xb94e, v167
	v_lshlrev_b32_e32 v117, 2, v117
	v_pack_b32_f16 v120, v138, v140
	v_mul_f16_e32 v128, 0xb94e, v156
	v_fmamk_f16 v151, v132, 0xb9fd, v122
	v_fmamk_f16 v138, v142, 0xb9fd, v126
	v_mul_f16_e32 v136, 0x3bf1, v167
	ds_write2_b32 v117, v14, v120 offset1:4
	v_fma_f16 v120, v169, 0xb9fd, -v128
	v_add_f16_e32 v118, v151, v118
	v_add_f16_e32 v14, v138, v158
	v_fmamk_f16 v138, v142, 0x2fb7, v136
	v_mul_f16_e32 v151, 0x3bf1, v156
	v_add_f16_e32 v120, v120, v168
	v_sub_f16_e32 v168, v103, v104
	v_pack_b32_f16 v140, v141, v145
	v_pack_b32_f16 v141, v148, v149
	v_add_f16_e32 v145, v138, v118
	v_fma_f16 v118, v169, 0x2fb7, -v151
	v_add_f16_e32 v138, v26, v25
	v_sub_f16_e32 v158, v26, v25
	v_pack_b32_f16 v149, v135, v131
	v_mul_f16_e32 v131, 0xb3a8, v168
	ds_write2_b32 v117, v140, v141 offset0:8 offset1:12
	v_add_f16_e32 v170, v103, v104
	v_mul_f16_e32 v135, 0xb3a8, v158
	v_mul_f16_e32 v141, 0x3770, v158
	v_add_f16_e32 v118, v118, v119
	v_fmamk_f16 v119, v138, 0xbbc4, v131
	v_mul_f16_e32 v140, 0x3770, v168
	v_pack_b32_f16 v148, v153, v154
	v_fma_f16 v153, v170, 0xbbc4, -v135
	v_fma_f16 v154, v170, 0x3b15, -v141
	v_add_f16_e32 v119, v119, v14
	v_fmamk_f16 v14, v138, 0x3b15, v140
	ds_write2_b32 v117, v148, v149 offset0:16 offset1:20
	v_add_f16_e32 v120, v153, v120
	v_add_f16_e32 v118, v154, v118
	v_pack_b32_f16 v148, v173, v174
	v_pack_b32_f16 v149, v175, v176
	v_add_f16_e32 v14, v14, v145
	v_pack_b32_f16 v145, v171, v172
	v_pack_b32_f16 v153, v155, v157
	;; [unrolled: 1-line block ×5, first 2 shown]
	ds_write2_b32 v117, v148, v149 offset0:24 offset1:28
	ds_write2_b32 v117, v145, v153 offset0:32 offset1:36
	;; [unrolled: 1-line block ×3, first 2 shown]
	ds_write_b32 v117, v143 offset:192
	s_and_saveexec_b32 s0, vcc_lo
	s_cbranch_execz .LBB0_5
; %bb.4:
	v_mul_f16_e32 v177, 0x2fb7, v161
	v_mul_f16_e32 v180, 0xbbc4, v164
	;; [unrolled: 1-line block ×5, first 2 shown]
	v_fmamk_f16 v155, v129, 0x3bf1, v177
	v_fmamk_f16 v183, v134, 0x33a8, v180
	v_mul_f16_e32 v190, 0xb3a8, v160
	v_fmamk_f16 v189, v111, 0x2fb7, v186
	v_mul_f16_e32 v191, 0x388b, v169
	v_add_f16_e32 v157, v94, v155
	v_mul_f16_e32 v193, 0x3b7b, v162
	v_fmamk_f16 v192, v124, 0xbbc4, v190
	v_add_f16_e32 v189, v13, v189
	v_mul_f16_e32 v194, 0xb9fd, v170
	v_add_f16_e32 v157, v183, v157
	v_fmamk_f16 v183, v137, 0xbb7b, v184
	v_mul_f16_e32 v195, 0x3770, v163
	v_add_f16_e32 v189, v192, v189
	v_fmamk_f16 v192, v130, 0xb5ac, v193
	;; [unrolled: 3-line block ×6, first 2 shown]
	v_fmamk_f16 v200, v134, 0xb94e, v198
	v_add_f16_e32 v157, v183, v157
	v_fmamk_f16 v183, v158, 0x394e, v194
	v_mul_f16_e32 v201, 0x3b15, v165
	v_add_f16_e32 v189, v192, v189
	v_fmamk_f16 v192, v138, 0xb9fd, v199
	v_mul_f16_e32 v202, 0xbb7b, v159
	;; [unrolled: 3-line block ×4, first 2 shown]
	v_add_f16_e32 v183, v94, v183
	v_mul_f16_e32 v205, 0xbbc4, v169
	v_mul_f16_e32 v207, 0x3770, v162
	v_add_f16_e32 v192, v13, v192
	v_fmamk_f16 v206, v124, 0xb9fd, v204
	v_add_f16_e32 v183, v200, v183
	v_fmamk_f16 v200, v137, 0xb770, v201
	v_mul_f16_e32 v208, 0x388b, v170
	v_mul_f16_e32 v209, 0xbbf1, v163
	v_add_f16_e32 v192, v206, v192
	v_fmamk_f16 v206, v130, 0x3b15, v207
	v_add_f16_e32 v183, v200, v183
	v_fmamk_f16 v200, v139, 0x3bf1, v203
	;; [unrolled: 6-line block ×4, first 2 shown]
	v_fmamk_f16 v214, v134, 0xbbf1, v212
	v_mul_f16_e32 v215, 0x388b, v165
	v_add_f16_e32 v192, v206, v192
	v_fmamk_f16 v206, v138, 0x388b, v213
	v_add_f16_e32 v183, v200, v183
	v_fmamk_f16 v200, v129, 0x394e, v210
	v_mul_f16_e32 v216, 0xb94e, v159
	v_mul_f16_e32 v217, 0xbbc4, v166
	v_add_f16_e32 v192, v206, v192
	v_mul_f16_e32 v218, 0x3bf1, v160
	v_add_f16_e32 v200, v94, v200
	v_fmamk_f16 v206, v111, 0xb9fd, v216
	v_mul_f16_e32 v219, 0x3b15, v169
	v_mul_f16_e32 v221, 0xba95, v162
	v_fmamk_f16 v220, v124, 0x2fb7, v218
	v_add_f16_e32 v200, v214, v200
	v_fmamk_f16 v214, v137, 0x3a95, v215
	v_add_f16_e32 v206, v13, v206
	v_mul_f16_e32 v222, 0xb5ac, v170
	v_mul_f16_e32 v223, 0x33a8, v163
	;; [unrolled: 1-line block ×3, first 2 shown]
	v_add_f16_e32 v200, v214, v200
	v_fmamk_f16 v214, v139, 0xb3a8, v217
	v_add_f16_e32 v206, v220, v206
	v_fmamk_f16 v220, v130, 0x388b, v221
	v_mul_f16_e32 v172, 0x388b, v161
	v_mul_f16_e32 v161, 0xbbc4, v161
	v_add_f16_e32 v200, v214, v200
	v_fmamk_f16 v214, v156, 0xb770, v219
	v_add_f16_e32 v206, v220, v206
	v_fmamk_f16 v220, v132, 0xbbc4, v223
	v_mul_f16_e32 v224, 0x3770, v167
	v_mul_f16_e32 v152, 0x388b, v164
	v_add_f16_e32 v200, v214, v200
	v_fmamk_f16 v214, v158, 0x3b7b, v222
	v_mul_f16_e32 v174, 0xb5ac, v164
	v_mul_f16_e32 v164, 0x3b15, v164
	v_add_f16_e32 v206, v220, v206
	v_fmamk_f16 v220, v142, 0x3b15, v224
	v_add_f16_e32 v200, v214, v200
	v_fmamk_f16 v214, v129, 0x33a8, v161
	v_mul_f16_e32 v225, 0xbb7b, v168
	v_mul_f16_e32 v148, 0x2fb7, v165
	;; [unrolled: 1-line block ×3, first 2 shown]
	v_fmamk_f16 v226, v134, 0xb770, v164
	v_add_f16_e32 v214, v94, v214
	v_mul_f16_e32 v165, 0xb9fd, v165
	v_add_f16_e32 v206, v220, v206
	v_fmamk_f16 v220, v138, 0xb5ac, v225
	v_mul_f16_e32 v159, 0xb3a8, v159
	v_mul_f16_e32 v145, 0xb5ac, v166
	;; [unrolled: 1-line block ×3, first 2 shown]
	v_add_f16_e32 v214, v226, v214
	v_fmamk_f16 v226, v137, 0x394e, v165
	v_mul_f16_e32 v166, 0x388b, v166
	v_add_f16_e32 v206, v220, v206
	v_fmamk_f16 v220, v111, 0xbbc4, v159
	v_mul_f16_e32 v160, 0x3770, v160
	v_mul_f16_e32 v154, 0xb9fd, v169
	;; [unrolled: 1-line block ×3, first 2 shown]
	v_add_f16_e32 v214, v226, v214
	v_fmamk_f16 v226, v139, 0xba95, v166
	v_mul_f16_e32 v169, 0xb5ac, v169
	v_add_f16_e32 v220, v13, v220
	v_fmamk_f16 v227, v124, 0x3b15, v160
	v_mul_f16_e32 v162, 0xb94e, v162
	v_mul_f16_e32 v171, 0x388b, v111
	v_add_f16_e32 v214, v226, v214
	v_fmamk_f16 v226, v156, 0x3b7b, v169
	v_fmac_f16_e32 v161, 0xb3a8, v129
	v_add_f16_e32 v220, v227, v220
	v_fmamk_f16 v227, v130, 0xb9fd, v162
	v_mul_f16_e32 v163, 0x3a95, v163
	v_mul_f16_e32 v173, 0xb5ac, v124
	v_add_f16_e32 v214, v226, v214
	v_add_f16_e32 v161, v94, v161
	v_fmac_f16_e32 v164, 0x3770, v134
	v_add_f16_e32 v220, v227, v220
	v_fmamk_f16 v226, v132, 0x388b, v163
	v_mul_f16_e32 v167, 0xbb7b, v167
	v_fma_f16 v159, v111, 0xbbc4, -v159
	v_sub_f16_e32 v35, v171, v35
	v_mul_f16_e32 v175, 0xbbc4, v130
	v_add_f16_e32 v161, v164, v161
	v_fmac_f16_e32 v165, 0xb94e, v137
	v_add_f16_e32 v164, v226, v220
	v_fmamk_f16 v220, v142, 0xb5ac, v167
	v_mul_f16_e32 v168, 0x3bf1, v168
	v_add_f16_e32 v159, v13, v159
	v_fma_f16 v160, v124, 0x3b15, -v160
	v_add_f16_e32 v35, v13, v35
	v_sub_f16_e32 v112, v173, v112
	v_mul_f16_e32 v178, 0xb9fd, v132
	v_add_f16_e32 v161, v165, v161
	v_add_f16_e32 v164, v220, v164
	v_fmamk_f16 v165, v138, 0x2fb7, v168
	v_fmac_f16_e32 v210, 0xb94e, v129
	v_add_f16_e32 v159, v160, v159
	v_fma_f16 v160, v130, 0xb9fd, -v162
	v_fma_f16 v162, v111, 0xb9fd, -v216
	v_add_f16_e32 v35, v112, v35
	v_sub_f16_e32 v112, v175, v125
	v_add_f16_e32 v164, v165, v164
	v_add_f16_e32 v165, v94, v210
	v_fmac_f16_e32 v212, 0x3bf1, v134
	v_add_f16_e32 v159, v160, v159
	v_fma_f16 v160, v132, 0x388b, -v163
	v_add_f16_e32 v162, v13, v162
	v_fma_f16 v163, v124, 0x2fb7, -v218
	v_add_f16_e32 v35, v112, v35
	v_add_f16_e32 v21, v13, v21
	v_sub_f16_e32 v112, v178, v122
	v_add_f16_e32 v110, v94, v110
	v_add_f16_e32 v165, v212, v165
	v_fmac_f16_e32 v215, 0xba95, v137
	v_add_f16_e32 v159, v160, v159
	v_fma_f16 v160, v142, 0xb5ac, -v167
	v_add_f16_e32 v162, v163, v162
	v_fma_f16 v163, v130, 0x388b, -v221
	v_add_f16_e32 v21, v21, v30
	v_add_f16_e32 v30, v112, v35
	;; [unrolled: 1-line block ×4, first 2 shown]
	v_fmac_f16_e32 v217, 0x33a8, v139
	v_add_f16_e32 v159, v160, v159
	v_add_f16_e32 v160, v163, v162
	v_fma_f16 v162, v132, 0xbbc4, -v223
	v_add_f16_e32 v21, v21, v29
	v_add_f16_e32 v35, v35, v96
	v_mul_f16_e32 v149, 0x3b15, v111
	v_add_f16_e32 v165, v217, v165
	v_fmac_f16_e32 v219, 0x3770, v156
	v_fmac_f16_e32 v196, 0xbb7b, v129
	v_add_f16_e32 v160, v162, v160
	v_fma_f16 v162, v142, 0x3b15, -v224
	v_add_f16_e32 v21, v21, v28
	v_add_f16_e32 v35, v35, v98
	v_mul_f16_e32 v147, 0x388b, v124
	v_add_f16_e32 v163, v219, v165
	v_add_f16_e32 v165, v94, v196
	v_fmac_f16_e32 v198, 0x394e, v134
	v_add_f16_e32 v160, v162, v160
	v_fma_f16 v162, v111, 0xb5ac, -v202
	v_fma_f16 v111, v111, 0x2fb7, -v186
	v_add_f16_e32 v22, v22, v153
	v_sub_f16_e32 v15, v149, v15
	v_add_f16_e32 v21, v21, v27
	v_add_f16_e32 v27, v35, v102
	v_fmac_f16_e32 v166, 0x3a95, v139
	v_add_f16_e32 v165, v198, v165
	v_fmac_f16_e32 v201, 0x3770, v137
	v_fmac_f16_e32 v177, 0xbbf1, v129
	v_add_f16_e32 v162, v13, v162
	v_add_f16_e32 v111, v13, v111
	;; [unrolled: 1-line block ×6, first 2 shown]
	v_sub_f16_e32 v15, v147, v23
	v_add_f16_e32 v21, v21, v26
	v_add_f16_e32 v23, v27, v103
	v_mul_f16_e32 v144, 0x2fb7, v130
	v_add_f16_e32 v161, v166, v161
	v_fma_f16 v166, v138, 0x2fb7, -v168
	v_add_f16_e32 v129, v201, v165
	v_fma_f16 v165, v124, 0xb9fd, -v204
	v_add_f16_e32 v168, v94, v177
	v_fmac_f16_e32 v180, 0xb3a8, v134
	v_fma_f16 v124, v124, 0xbbc4, -v190
	v_add_f16_e32 v36, v94, v36
	v_add_f16_e32 v123, v123, v174
	;; [unrolled: 1-line block ×7, first 2 shown]
	v_mul_f16_e32 v143, 0xb5ac, v132
	v_add_f16_e32 v134, v165, v162
	v_fma_f16 v162, v130, 0x3b15, -v207
	v_add_f16_e32 v165, v180, v168
	v_fmac_f16_e32 v184, 0x3b7b, v137
	v_add_f16_e32 v111, v124, v111
	v_fma_f16 v124, v130, 0xb5ac, -v193
	v_add_f16_e32 v36, v123, v36
	v_add_f16_e32 v123, v127, v176
	v_sub_f16_e32 v21, v144, v31
	v_add_f16_e32 v22, v24, v22
	v_add_f16_e32 v24, v34, v145
	v_add_f16_e32 v15, v15, v20
	v_add_f16_e32 v20, v23, v105
	v_mul_f16_e32 v150, 0xb9fd, v142
	v_mul_f16_e32 v181, 0x2fb7, v142
	v_add_f16_e32 v134, v162, v134
	v_add_f16_e32 v162, v184, v165
	v_fmac_f16_e32 v187, 0x3770, v139
	v_add_f16_e32 v111, v124, v111
	v_fma_f16 v124, v132, 0x3b15, -v195
	v_add_f16_e32 v36, v123, v36
	v_add_f16_e32 v123, v133, v179
	;; [unrolled: 1-line block ×3, first 2 shown]
	v_sub_f16_e32 v21, v143, v33
	v_add_f16_e32 v22, v24, v22
	v_add_f16_e32 v15, v15, v19
	;; [unrolled: 1-line block ×4, first 2 shown]
	v_mul_f16_e32 v146, 0xbbc4, v138
	v_mul_f16_e32 v155, 0xbbc4, v170
	;; [unrolled: 1-line block ×4, first 2 shown]
	v_fmac_f16_e32 v203, 0xbbf1, v139
	v_fma_f16 v137, v132, 0x2fb7, -v209
	v_add_f16_e32 v139, v187, v162
	v_fmac_f16_e32 v191, 0xba95, v156
	v_add_f16_e32 v111, v124, v111
	v_fma_f16 v124, v142, 0x388b, -v197
	v_add_f16_e32 v36, v123, v36
	v_add_f16_e32 v123, v151, v182
	v_sub_f16_e32 v95, v181, v136
	v_add_f16_e32 v13, v21, v13
	v_sub_f16_e32 v21, v150, v126
	v_add_f16_e32 v15, v15, v18
	v_add_f16_e32 v18, v19, v22
	;; [unrolled: 1-line block ×4, first 2 shown]
	v_fmac_f16_e32 v205, 0x33a8, v156
	v_add_f16_e32 v134, v137, v134
	v_fma_f16 v137, v142, 0xbbc4, -v211
	v_add_f16_e32 v139, v191, v139
	v_fmac_f16_e32 v194, 0xb94e, v158
	v_add_f16_e32 v111, v124, v111
	v_add_f16_e32 v36, v123, v36
	;; [unrolled: 1-line block ×3, first 2 shown]
	v_fma_f16 v110, v138, 0xb9fd, -v199
	v_add_f16_e32 v30, v95, v30
	v_sub_f16_e32 v28, v185, v140
	v_add_f16_e32 v20, v135, v155
	v_add_f16_e32 v13, v21, v13
	;; [unrolled: 1-line block ×3, first 2 shown]
	v_mul_u32_u24_e32 v17, 52, v91
	v_add_f16_e32 v19, v19, v108
	v_sub_f16_e32 v21, v146, v131
	v_mul_f16_e32 v170, 0x2fb7, v170
	v_fmac_f16_e32 v169, 0xbb7b, v156
	v_fmac_f16_e32 v222, 0xbb7b, v158
	v_fma_f16 v167, v138, 0xb5ac, -v225
	v_add_f16_e32 v129, v205, v129
	v_fmac_f16_e32 v208, 0x3a95, v158
	v_add_f16_e32 v134, v137, v134
	v_fma_f16 v137, v138, 0x388b, -v213
	v_add_f16_e32 v125, v194, v139
	v_add_f16_e32 v29, v122, v36
	;; [unrolled: 1-line block ×4, first 2 shown]
	v_or_b32_e32 v16, v17, v76
	v_add_f16_e32 v17, v19, v109
	v_add_f16_e32 v13, v21, v13
	;; [unrolled: 1-line block ×4, first 2 shown]
	v_fmamk_f16 v226, v158, 0xbbf1, v170
	v_add_f16_e32 v161, v169, v161
	v_fmac_f16_e32 v170, 0x3bf1, v158
	v_add_f16_e32 v163, v222, v163
	v_add_f16_e32 v129, v208, v129
	v_lshlrev_b32_e32 v16, 2, v16
	v_pack_b32_f16 v15, v15, v17
	v_pack_b32_f16 v13, v13, v18
	;; [unrolled: 1-line block ×4, first 2 shown]
	v_add_f16_e32 v19, v137, v134
	v_add_f16_e32 v20, v167, v160
	;; [unrolled: 1-line block ×5, first 2 shown]
	ds_write2_b32 v16, v15, v13 offset1:4
	ds_write2_b32 v16, v17, v18 offset0:8 offset1:12
	v_pack_b32_f16 v13, v19, v129
	v_pack_b32_f16 v15, v20, v163
	;; [unrolled: 1-line block ×7, first 2 shown]
	v_perm_b32 v22, v118, v14, 0x5040100
	v_perm_b32 v23, v120, v119, 0x5040100
	ds_write2_b32 v16, v13, v15 offset0:16 offset1:20
	ds_write2_b32 v16, v17, v18 offset0:24 offset1:28
	;; [unrolled: 1-line block ×4, first 2 shown]
	ds_write_b32 v16, v23 offset:192
.LBB0_5:
	s_or_b32 exec_lo, exec_lo, s0
	v_and_b32_e32 v13, 0xff, v92
	v_and_b32_e32 v15, 0xff, v93
	v_mov_b32_e32 v16, 0x4ec5
	v_mov_b32_e32 v29, 2
	v_lshlrev_b32_e32 v28, 2, v71
	v_mul_lo_u16 v13, 0x4f, v13
	v_mul_lo_u16 v15, 0x4f, v15
	v_mul_u32_u24_sdwa v125, v116, v16 dst_sel:DWORD dst_unused:UNUSED_PAD src0_sel:WORD_0 src1_sel:DWORD
	v_mul_u32_u24_sdwa v36, v115, v16 dst_sel:DWORD dst_unused:UNUSED_PAD src0_sel:WORD_0 src1_sel:DWORD
	;; [unrolled: 1-line block ×3, first 2 shown]
	v_lshrrev_b16 v13, 12, v13
	v_lshrrev_b16 v15, 12, v15
	v_lshrrev_b32_e32 v18, 20, v125
	v_lshrrev_b32_e32 v17, 20, v36
	;; [unrolled: 1-line block ×3, first 2 shown]
	v_mul_lo_u16 v13, v13, 52
	v_mul_lo_u16 v15, v15, 52
	v_mul_u32_u24_sdwa v127, v114, v16 dst_sel:DWORD dst_unused:UNUSED_PAD src0_sel:WORD_0 src1_sel:DWORD
	v_mul_lo_u16 v17, v17, 52
	s_waitcnt lgkmcnt(0)
	v_sub_nc_u16 v13, v92, v13
	v_sub_nc_u16 v15, v93, v15
	s_barrier
	v_sub_nc_u16 v17, v115, v17
	buffer_gl0_inv
	v_lshlrev_b32_sdwa v93, v29, v13 dst_sel:DWORD dst_unused:UNUSED_PAD src0_sel:DWORD src1_sel:BYTE_0
	v_mul_lo_u16 v13, v18, 52
	v_lshlrev_b32_sdwa v92, v29, v15 dst_sel:DWORD dst_unused:UNUSED_PAD src0_sel:DWORD src1_sel:BYTE_0
	v_mul_lo_u16 v15, v19, 52
	v_mul_u32_u24_sdwa v18, v97, v16 dst_sel:DWORD dst_unused:UNUSED_PAD src0_sel:WORD_0 src1_sel:DWORD
	v_lshrrev_b32_e32 v19, 20, v127
	v_sub_nc_u16 v13, v116, v13
	global_load_dword v102, v28, s[14:15] offset:200
	v_sub_nc_u16 v15, v113, v15
	v_lshrrev_b32_e32 v18, 20, v18
	v_lshlrev_b32_sdwa v96, v29, v17 dst_sel:DWORD dst_unused:UNUSED_PAD src0_sel:DWORD src1_sel:WORD_0
	v_lshlrev_b32_sdwa v95, v29, v13 dst_sel:DWORD dst_unused:UNUSED_PAD src0_sel:DWORD src1_sel:WORD_0
	v_mul_lo_u16 v13, v19, 52
	v_lshlrev_b32_sdwa v94, v29, v15 dst_sel:DWORD dst_unused:UNUSED_PAD src0_sel:DWORD src1_sel:WORD_0
	v_mul_lo_u16 v15, v18, 52
	v_mul_u32_u24_sdwa v17, v99, v16 dst_sel:DWORD dst_unused:UNUSED_PAD src0_sel:WORD_0 src1_sel:DWORD
	v_mul_u32_u24_sdwa v18, v100, v16 dst_sel:DWORD dst_unused:UNUSED_PAD src0_sel:WORD_0 src1_sel:DWORD
	v_sub_nc_u16 v13, v114, v13
	v_mul_u32_u24_sdwa v16, v101, v16 dst_sel:DWORD dst_unused:UNUSED_PAD src0_sel:WORD_0 src1_sel:DWORD
	v_sub_nc_u16 v15, v97, v15
	v_lshrrev_b32_e32 v17, 20, v17
	v_lshrrev_b32_e32 v18, 20, v18
	v_lshlrev_b32_sdwa v98, v29, v13 dst_sel:DWORD dst_unused:UNUSED_PAD src0_sel:DWORD src1_sel:WORD_0
	v_lshrrev_b32_e32 v13, 20, v16
	v_lshlrev_b32_sdwa v97, v29, v15 dst_sel:DWORD dst_unused:UNUSED_PAD src0_sel:DWORD src1_sel:WORD_0
	v_mul_lo_u16 v15, v17, 52
	v_mul_lo_u16 v16, v18, 52
	s_clause 0x1
	global_load_dword v112, v93, s[14:15] offset:200
	global_load_dword v108, v94, s[14:15] offset:200
	v_mul_lo_u16 v13, v13, 52
	v_sub_nc_u16 v15, v99, v15
	v_sub_nc_u16 v16, v100, v16
	s_clause 0x2
	global_load_dword v111, v92, s[14:15] offset:200
	global_load_dword v109, v96, s[14:15] offset:200
	;; [unrolled: 1-line block ×3, first 2 shown]
	v_sub_nc_u16 v13, v101, v13
	v_lshlrev_b32_sdwa v101, v29, v15 dst_sel:DWORD dst_unused:UNUSED_PAD src0_sel:DWORD src1_sel:WORD_0
	s_clause 0x1
	global_load_dword v110, v95, s[14:15] offset:200
	global_load_dword v107, v98, s[14:15] offset:200
	v_lshlrev_b32_sdwa v100, v29, v16 dst_sel:DWORD dst_unused:UNUSED_PAD src0_sel:DWORD src1_sel:WORD_0
	v_lshlrev_b32_sdwa v99, v29, v13 dst_sel:DWORD dst_unused:UNUSED_PAD src0_sel:DWORD src1_sel:WORD_0
	s_clause 0x2
	global_load_dword v105, v101, s[14:15] offset:200
	global_load_dword v104, v100, s[14:15] offset:200
	;; [unrolled: 1-line block ×3, first 2 shown]
	v_add_nc_u32_e32 v140, 0x800, v68
	v_add_nc_u32_e32 v27, 0xa00, v68
	;; [unrolled: 1-line block ×5, first 2 shown]
	ds_read2_b32 v[15:16], v68 offset1:52
	ds_read2_b32 v[17:18], v68 offset0:104 offset1:156
	v_add_nc_u32_e32 v13, 0x1000, v68
	v_lshlrev_b32_e32 v128, 2, v121
	ds_read2_b32 v[19:20], v140 offset0:112 offset1:164
	ds_read2_b32 v[21:22], v27 offset0:88 offset1:140
	;; [unrolled: 1-line block ×9, first 2 shown]
	v_lshrrev_b32_e32 v36, 21, v36
	v_lshrrev_b32_e32 v129, 21, v125
	;; [unrolled: 1-line block ×3, first 2 shown]
	ds_read2_b32 v[125:126], v13 offset0:120 offset1:172
	s_waitcnt vmcnt(0) lgkmcnt(0)
	v_mul_lo_u16 v36, 0x68, v36
	v_mul_lo_u16 v129, 0x68, v129
	s_barrier
	buffer_gl0_inv
	v_lshrrev_b32_e32 v127, 21, v127
	v_sub_nc_u16 v36, v115, v36
	v_lshrrev_b32_e32 v115, 16, v19
	v_sub_nc_u16 v116, v116, v129
	v_lshrrev_b32_e32 v129, 16, v20
	v_lshrrev_b32_e32 v135, 16, v21
	v_lshrrev_b32_e32 v131, 16, v15
	v_lshlrev_b16 v157, 3, v36
	v_lshlrev_b16 v158, 3, v116
	v_lshrrev_b32_e32 v132, 16, v16
	v_lshrrev_b32_e32 v136, 16, v22
	v_lshrrev_b32_e32 v138, 16, v25
	v_and_b32_e32 v157, 0xffff, v157
	v_lshrrev_b32_e32 v144, 16, v26
	v_lshrrev_b32_e32 v146, 16, v32
	;; [unrolled: 1-line block ×17, first 2 shown]
	v_mul_lo_u16 v130, 0x68, v130
	v_add_nc_u32_e32 v159, 0x200, v93
	v_add_nc_u32_e32 v160, 0x400, v92
	v_mul_lo_u16 v127, 0x68, v127
	v_add_nc_u32_e32 v161, 0x400, v96
	v_add_nc_u32_e32 v162, 0x800, v95
	;; [unrolled: 1-line block ×8, first 2 shown]
	s_add_u32 s4, s12, 0x1380
	s_addc_u32 s5, s13, 0
	v_mul_f16_sdwa v169, v115, v102 dst_sel:DWORD dst_unused:UNUSED_PAD src0_sel:DWORD src1_sel:WORD_1
	v_mul_f16_sdwa v170, v19, v102 dst_sel:DWORD dst_unused:UNUSED_PAD src0_sel:DWORD src1_sel:WORD_1
	;; [unrolled: 1-line block ×4, first 2 shown]
	v_fma_f16 v19, v19, v102, -v169
	v_fmac_f16_e32 v170, v115, v102
	v_fma_f16 v20, v20, v102, -v171
	v_fmac_f16_e32 v172, v129, v102
	v_and_b32_e32 v115, 0xffff, v158
	v_sub_f16_e32 v129, v15, v19
	v_sub_f16_e32 v158, v131, v170
	;; [unrolled: 1-line block ×4, first 2 shown]
	v_add_co_u32 v19, s0, s14, v157
	v_fma_f16 v157, v15, 2.0, -v129
	v_fma_f16 v131, v131, 2.0, -v158
	;; [unrolled: 1-line block ×4, first 2 shown]
	v_add_co_ci_u32_e64 v20, null, s15, 0, s0
	v_add_co_u32 v15, s0, s14, v115
	v_pack_b32_f16 v115, v129, v158
	v_pack_b32_f16 v131, v157, v131
	v_mul_f16_sdwa v157, v135, v112 dst_sel:DWORD dst_unused:UNUSED_PAD src0_sel:DWORD src1_sel:WORD_1
	v_mul_f16_sdwa v158, v21, v112 dst_sel:DWORD dst_unused:UNUSED_PAD src0_sel:DWORD src1_sel:WORD_1
	v_pack_b32_f16 v129, v169, v170
	v_mul_f16_sdwa v169, v136, v111 dst_sel:DWORD dst_unused:UNUSED_PAD src0_sel:DWORD src1_sel:WORD_1
	v_mul_f16_sdwa v170, v22, v111 dst_sel:DWORD dst_unused:UNUSED_PAD src0_sel:DWORD src1_sel:WORD_1
	;; [unrolled: 3-line block ×3, first 2 shown]
	v_mul_f16_sdwa v173, v144, v110 dst_sel:DWORD dst_unused:UNUSED_PAD src0_sel:DWORD src1_sel:WORD_1
	v_mul_f16_sdwa v174, v26, v110 dst_sel:DWORD dst_unused:UNUSED_PAD src0_sel:DWORD src1_sel:WORD_1
	;; [unrolled: 1-line block ×14, first 2 shown]
	v_fma_f16 v21, v21, v112, -v157
	v_fmac_f16_e32 v158, v135, v112
	v_fma_f16 v22, v22, v111, -v169
	v_fmac_f16_e32 v170, v136, v111
	;; [unrolled: 2-line block ×5, first 2 shown]
	ds_write2_b32 v68, v131, v115 offset1:52
	ds_write2_b32 v68, v132, v129 offset0:104 offset1:156
	v_fma_f16 v33, v33, v107, -v177
	v_fmac_f16_e32 v178, v148, v107
	v_fma_f16 v115, v121, v106, -v179
	v_fmac_f16_e32 v180, v150, v106
	;; [unrolled: 2-line block ×5, first 2 shown]
	v_sub_f16_e32 v21, v17, v21
	v_sub_f16_e32 v126, v133, v158
	;; [unrolled: 1-line block ×20, first 2 shown]
	v_fma_f16 v17, v17, 2.0, -v21
	v_fma_f16 v133, v133, 2.0, -v126
	v_fma_f16 v18, v18, 2.0, -v22
	v_fma_f16 v134, v134, 2.0, -v129
	v_fma_f16 v23, v23, 2.0, -v25
	v_fma_f16 v137, v137, 2.0, -v131
	v_fma_f16 v24, v24, 2.0, -v26
	v_fma_f16 v143, v143, 2.0, -v132
	v_fma_f16 v30, v30, 2.0, -v32
	v_fma_f16 v145, v145, 2.0, -v135
	v_fma_f16 v31, v31, 2.0, -v33
	v_fma_f16 v147, v147, 2.0, -v136
	v_fma_f16 v34, v34, 2.0, -v115
	v_fma_f16 v149, v149, 2.0, -v138
	v_fma_f16 v35, v35, 2.0, -v121
	v_fma_f16 v150, v151, 2.0, -v144
	v_fma_f16 v123, v123, 2.0, -v122
	v_fma_f16 v151, v153, 2.0, -v146
	v_fma_f16 v124, v124, 2.0, -v125
	v_fma_f16 v152, v155, 2.0, -v148
	v_pack_b32_f16 v21, v21, v126
	v_pack_b32_f16 v17, v17, v133
	;; [unrolled: 1-line block ×20, first 2 shown]
	ds_write2_b32 v159, v17, v21 offset0:80 offset1:132
	ds_write2_b32 v160, v18, v22 offset0:56 offset1:108
	;; [unrolled: 1-line block ×10, first 2 shown]
	v_sub_nc_u16 v32, v113, v130
	v_add_co_ci_u32_e64 v16, null, s15, 0, s0
	v_sub_nc_u16 v123, v114, v127
	s_waitcnt lgkmcnt(0)
	s_barrier
	buffer_gl0_inv
	s_clause 0x3
	global_load_dwordx2 v[25:26], v128, s[14:15] offset:408
	global_load_dwordx2 v[21:22], v[19:20], off offset:408
	global_load_dwordx2 v[19:20], v[15:16], off offset:408
	global_load_dwordx2 v[23:24], v45, s[14:15] offset:408
	v_lshlrev_b16 v15, 3, v32
	v_lshlrev_b16 v16, 3, v123
	v_lshlrev_b32_sdwa v114, v29, v32 dst_sel:DWORD dst_unused:UNUSED_PAD src0_sel:DWORD src1_sel:WORD_0
	v_lshlrev_b32_sdwa v113, v29, v116 dst_sel:DWORD dst_unused:UNUSED_PAD src0_sel:DWORD src1_sel:WORD_0
	;; [unrolled: 1-line block ×3, first 2 shown]
	v_and_b32_e32 v15, 0xffff, v15
	v_and_b32_e32 v17, 0xffff, v16
	v_lshlrev_b32_sdwa v115, v29, v36 dst_sel:DWORD dst_unused:UNUSED_PAD src0_sel:DWORD src1_sel:WORD_0
	v_add_nc_u32_e32 v143, 0x600, v68
	v_add_nc_u32_e32 v36, 0x800, v113
	v_add_co_u32 v15, s0, s14, v15
	v_add_co_ci_u32_e64 v16, null, s15, 0, s0
	v_add_co_u32 v30, s0, s14, v17
	v_add_co_ci_u32_e64 v31, null, s15, 0, s0
	s_clause 0x1
	global_load_dwordx2 v[17:18], v[15:16], off offset:408
	global_load_dwordx2 v[15:16], v[30:31], off offset:408
	ds_read2_b32 v[32:33], v68 offset1:52
	ds_read2_b32 v[34:35], v142 offset0:160 offset1:212
	ds_read2_b32 v[121:122], v139 offset0:64 offset1:116
	;; [unrolled: 1-line block ×11, first 2 shown]
	v_add_co_u32 v30, s0, s14, v28
	v_add_co_ci_u32_e64 v31, null, s15, 0, s0
	v_add_nc_u32_e32 v29, 0x800, v115
	v_add_nc_u32_e32 v146, 0xe00, v114
	;; [unrolled: 1-line block ×3, first 2 shown]
	s_waitcnt vmcnt(0) lgkmcnt(0)
	s_barrier
	buffer_gl0_inv
	v_lshrrev_b32_e32 v160, 16, v129
	v_lshrrev_b32_e32 v161, 16, v131
	;; [unrolled: 1-line block ×24, first 2 shown]
	v_mul_f16_sdwa v188, v161, v21 dst_sel:DWORD dst_unused:UNUSED_PAD src0_sel:DWORD src1_sel:WORD_1
	v_mul_f16_sdwa v172, v149, v25 dst_sel:DWORD dst_unused:UNUSED_PAD src0_sel:DWORD src1_sel:WORD_1
	;; [unrolled: 1-line block ×32, first 2 shown]
	v_fma_f16 v34, v34, v25, -v172
	v_fmac_f16_e32 v173, v149, v25
	v_fma_f16 v121, v121, v26, -v174
	v_fmac_f16_e32 v175, v150, v26
	;; [unrolled: 2-line block ×16, first 2 shown]
	v_add_f16_e32 v150, v34, v121
	v_add_f16_e32 v155, v173, v175
	;; [unrolled: 1-line block ×5, first 2 shown]
	v_sub_f16_e32 v152, v173, v175
	v_add_f16_e32 v153, v148, v173
	v_sub_f16_e32 v34, v34, v121
	v_add_f16_e32 v161, v151, v177
	v_add_f16_e32 v164, v123, v125
	v_add_f16_e32 v165, v125, v127
	v_sub_f16_e32 v167, v181, v183
	v_add_f16_e32 v168, v154, v181
	v_add_f16_e32 v170, v181, v183
	;; [unrolled: 4-line block ×5, first 2 shown]
	v_add_f16_e32 v190, v135, v137
	v_add_f16_e32 v192, v137, v144
	v_sub_f16_e32 v193, v197, v199
	v_add_f16_e32 v194, v166, v197
	v_add_f16_e32 v196, v197, v199
	;; [unrolled: 1-line block ×4, first 2 shown]
	v_sub_f16_e32 v200, v201, v203
	v_add_f16_e32 v202, v169, v201
	v_add_f16_e32 v201, v201, v203
	v_fma_f16 v32, -0.5, v150, v32
	v_fmac_f16_e32 v148, -0.5, v155
	v_add_f16_e32 v156, v33, v35
	v_sub_f16_e32 v159, v177, v179
	v_sub_f16_e32 v35, v35, v122
	v_fmac_f16_e32 v33, -0.5, v158
	v_fmac_f16_e32 v151, -0.5, v162
	v_sub_f16_e32 v125, v125, v127
	v_add_f16_e32 v171, v124, v126
	v_sub_f16_e32 v126, v126, v128
	v_add_f16_e32 v177, v129, v131
	;; [unrolled: 2-line block ×3, first 2 shown]
	v_sub_f16_e32 v132, v132, v134
	v_sub_f16_e32 v137, v137, v144
	;; [unrolled: 1-line block ×3, first 2 shown]
	v_add_f16_e32 v150, v161, v179
	v_add_f16_e32 v127, v164, v127
	v_fma_f16 v123, -0.5, v165, v123
	v_fmac_f16_e32 v154, -0.5, v170
	v_fmac_f16_e32 v124, -0.5, v172
	;; [unrolled: 1-line block ×3, first 2 shown]
	v_fma_f16 v129, -0.5, v178, v129
	v_fmac_f16_e32 v160, -0.5, v182
	v_fmac_f16_e32 v130, -0.5, v185
	;; [unrolled: 1-line block ×3, first 2 shown]
	v_add_f16_e32 v144, v190, v144
	v_fma_f16 v135, -0.5, v192, v135
	v_add_f16_e32 v161, v194, v199
	v_fmac_f16_e32 v166, -0.5, v196
	v_add_f16_e32 v145, v197, v145
	v_fmac_f16_e32 v136, -0.5, v198
	;; [unrolled: 2-line block ×3, first 2 shown]
	v_fmamk_f16 v164, v152, 0x3aee, v32
	v_fmac_f16_e32 v32, 0xbaee, v152
	v_fmamk_f16 v152, v34, 0xbaee, v148
	v_fmac_f16_e32 v148, 0x3aee, v34
	v_add_f16_e32 v121, v149, v121
	v_add_f16_e32 v149, v153, v175
	;; [unrolled: 1-line block ×3, first 2 shown]
	v_fmamk_f16 v34, v159, 0x3aee, v33
	v_fmac_f16_e32 v33, 0xbaee, v159
	v_fmamk_f16 v159, v35, 0xbaee, v151
	v_add_f16_e32 v153, v168, v183
	v_fmac_f16_e32 v151, 0x3aee, v35
	v_add_f16_e32 v128, v171, v128
	v_add_f16_e32 v155, v174, v187
	;; [unrolled: 1-line block ×6, first 2 shown]
	v_fmamk_f16 v35, v167, 0x3aee, v123
	v_fmac_f16_e32 v123, 0xbaee, v167
	v_fmamk_f16 v165, v125, 0xbaee, v154
	v_fmac_f16_e32 v154, 0x3aee, v125
	;; [unrolled: 2-line block ×12, first 2 shown]
	v_pack_b32_f16 v138, v144, v161
	v_pack_b32_f16 v144, v145, v162
	;; [unrolled: 1-line block ×24, first 2 shown]
	ds_write_b32 v68, v145 offset:416
	ds_write_b32 v68, v32 offset:832
	ds_write2_b32 v68, v121, v122 offset1:52
	ds_write_b32 v68, v34 offset:624
	ds_write2_b32 v142, v33, v127 offset0:4 offset1:56
	ds_write2_b32 v142, v128, v35 offset0:108 offset1:160
	;; [unrolled: 1-line block ×3, first 2 shown]
	ds_write_b32 v68, v124 offset:2288
	ds_write2_b32 v29, v133, v126 offset0:112 offset1:216
	ds_write_b32 v115, v129 offset:3328
	ds_write2_b32 v36, v134, v131 offset0:112 offset1:216
	;; [unrolled: 2-line block ×4, first 2 shown]
	ds_write_b32 v116, v136 offset:4576
	v_add_co_u32 v32, s0, 0x800, v30
	s_waitcnt lgkmcnt(0)
	s_barrier
	buffer_gl0_inv
	s_clause 0x1
	global_load_dword v121, v28, s[14:15] offset:1240
	global_load_dword v122, v28, s[14:15] offset:1448
	v_add_co_ci_u32_e64 v33, s0, 0, v31, s0
	s_clause 0x3
	global_load_dword v126, v28, s[14:15] offset:1656
	global_load_dword v124, v28, s[14:15] offset:1864
	global_load_dword v125, v[32:33], off offset:24
	global_load_dword v123, v[32:33], off offset:232
	ds_read2_b32 v[34:35], v68 offset1:52
	ds_read2_b32 v[127:128], v140 offset0:112 offset1:164
	ds_read2_b32 v[129:130], v68 offset0:104 offset1:156
	;; [unrolled: 1-line block ×11, first 2 shown]
	s_waitcnt vmcnt(0) lgkmcnt(0)
	s_barrier
	buffer_gl0_inv
	v_add_nc_u32_e32 v144, 0xe00, v68
	v_lshrrev_b32_e32 v29, 16, v34
	v_lshrrev_b32_e32 v36, 16, v127
	;; [unrolled: 1-line block ×24, first 2 shown]
	v_mul_f16_sdwa v177, v36, v121 dst_sel:DWORD dst_unused:UNUSED_PAD src0_sel:DWORD src1_sel:WORD_1
	v_mul_f16_sdwa v178, v127, v121 dst_sel:DWORD dst_unused:UNUSED_PAD src0_sel:DWORD src1_sel:WORD_1
	v_mul_f16_sdwa v179, v156, v122 dst_sel:DWORD dst_unused:UNUSED_PAD src0_sel:DWORD src1_sel:WORD_1
	v_mul_f16_sdwa v180, v128, v122 dst_sel:DWORD dst_unused:UNUSED_PAD src0_sel:DWORD src1_sel:WORD_1
	v_mul_f16_sdwa v181, v158, v126 dst_sel:DWORD dst_unused:UNUSED_PAD src0_sel:DWORD src1_sel:WORD_1
	v_mul_f16_sdwa v182, v131, v126 dst_sel:DWORD dst_unused:UNUSED_PAD src0_sel:DWORD src1_sel:WORD_1
	v_mul_f16_sdwa v183, v160, v124 dst_sel:DWORD dst_unused:UNUSED_PAD src0_sel:DWORD src1_sel:WORD_1
	v_mul_f16_sdwa v184, v132, v124 dst_sel:DWORD dst_unused:UNUSED_PAD src0_sel:DWORD src1_sel:WORD_1
	v_mul_f16_sdwa v185, v162, v125 dst_sel:DWORD dst_unused:UNUSED_PAD src0_sel:DWORD src1_sel:WORD_1
	v_mul_f16_sdwa v186, v135, v125 dst_sel:DWORD dst_unused:UNUSED_PAD src0_sel:DWORD src1_sel:WORD_1
	v_mul_f16_sdwa v187, v164, v123 dst_sel:DWORD dst_unused:UNUSED_PAD src0_sel:DWORD src1_sel:WORD_1
	v_mul_f16_sdwa v188, v136, v123 dst_sel:DWORD dst_unused:UNUSED_PAD src0_sel:DWORD src1_sel:WORD_1
	v_mul_f16_sdwa v189, v166, v121 dst_sel:DWORD dst_unused:UNUSED_PAD src0_sel:DWORD src1_sel:WORD_1
	v_mul_f16_sdwa v190, v145, v121 dst_sel:DWORD dst_unused:UNUSED_PAD src0_sel:DWORD src1_sel:WORD_1
	v_mul_f16_sdwa v191, v168, v122 dst_sel:DWORD dst_unused:UNUSED_PAD src0_sel:DWORD src1_sel:WORD_1
	v_mul_f16_sdwa v192, v146, v122 dst_sel:DWORD dst_unused:UNUSED_PAD src0_sel:DWORD src1_sel:WORD_1
	v_mul_f16_sdwa v193, v170, v126 dst_sel:DWORD dst_unused:UNUSED_PAD src0_sel:DWORD src1_sel:WORD_1
	v_mul_f16_sdwa v194, v149, v126 dst_sel:DWORD dst_unused:UNUSED_PAD src0_sel:DWORD src1_sel:WORD_1
	v_mul_f16_sdwa v195, v172, v124 dst_sel:DWORD dst_unused:UNUSED_PAD src0_sel:DWORD src1_sel:WORD_1
	v_mul_f16_sdwa v196, v150, v124 dst_sel:DWORD dst_unused:UNUSED_PAD src0_sel:DWORD src1_sel:WORD_1
	v_mul_f16_sdwa v197, v174, v125 dst_sel:DWORD dst_unused:UNUSED_PAD src0_sel:DWORD src1_sel:WORD_1
	v_mul_f16_sdwa v198, v153, v125 dst_sel:DWORD dst_unused:UNUSED_PAD src0_sel:DWORD src1_sel:WORD_1
	v_mul_f16_sdwa v199, v176, v123 dst_sel:DWORD dst_unused:UNUSED_PAD src0_sel:DWORD src1_sel:WORD_1
	v_mul_f16_sdwa v200, v154, v123 dst_sel:DWORD dst_unused:UNUSED_PAD src0_sel:DWORD src1_sel:WORD_1
	v_fma_f16 v127, v127, v121, -v177
	v_fmac_f16_e32 v178, v36, v121
	v_fma_f16 v36, v128, v122, -v179
	v_fmac_f16_e32 v180, v156, v122
	;; [unrolled: 2-line block ×12, first 2 shown]
	v_sub_f16_e32 v127, v34, v127
	v_sub_f16_e32 v154, v29, v178
	;; [unrolled: 1-line block ×24, first 2 shown]
	v_fma_f16 v34, v34, 2.0, -v127
	v_fma_f16 v29, v29, 2.0, -v154
	;; [unrolled: 1-line block ×8, first 2 shown]
	v_pack_b32_f16 v127, v127, v154
	v_fma_f16 v133, v133, 2.0, -v132
	v_fma_f16 v161, v161, 2.0, -v162
	;; [unrolled: 1-line block ×16, first 2 shown]
	v_pack_b32_f16 v29, v34, v29
	v_pack_b32_f16 v34, v35, v155
	;; [unrolled: 1-line block ×4, first 2 shown]
	ds_write_b32 v68, v127 offset:1248
	v_pack_b32_f16 v35, v129, v157
	v_pack_b32_f16 v127, v130, v159
	;; [unrolled: 1-line block ×19, first 2 shown]
	ds_write2_b32 v68, v29, v34 offset1:52
	ds_write2_b32 v142, v36, v128 offset0:108 offset1:160
	ds_write2_b32 v68, v35, v127 offset0:104 offset1:156
	;; [unrolled: 1-line block ×10, first 2 shown]
	ds_write_b32 v68, v153 offset:4784
	v_add_co_u32 v29, s0, 0x1000, v30
	v_add_co_ci_u32_e64 v30, s0, 0, v31, s0
	s_waitcnt lgkmcnt(0)
	s_barrier
	buffer_gl0_inv
	s_clause 0xb
	global_load_dword v136, v[32:33], off offset:440
	global_load_dword v131, v[32:33], off offset:648
	;; [unrolled: 1-line block ×12, first 2 shown]
	ds_read2_b32 v[29:30], v68 offset1:52
	ds_read2_b32 v[31:32], v140 offset0:112 offset1:164
	ds_read2_b32 v[33:34], v68 offset0:104 offset1:156
	;; [unrolled: 1-line block ×11, first 2 shown]
	s_waitcnt lgkmcnt(11)
	v_lshrrev_b32_e32 v161, 16, v29
	s_waitcnt lgkmcnt(10)
	v_lshrrev_b32_e32 v162, 16, v31
	v_lshrrev_b32_e32 v164, 16, v32
	s_waitcnt lgkmcnt(8)
	v_lshrrev_b32_e32 v166, 16, v35
	;; [unrolled: 3-line block ×6, first 2 shown]
	v_lshrrev_b32_e32 v184, 16, v160
	v_lshrrev_b32_e32 v163, 16, v30
	;; [unrolled: 1-line block ×12, first 2 shown]
	s_waitcnt vmcnt(11)
	v_mul_f16_sdwa v185, v162, v136 dst_sel:DWORD dst_unused:UNUSED_PAD src0_sel:DWORD src1_sel:WORD_1
	v_mul_f16_sdwa v186, v31, v136 dst_sel:DWORD dst_unused:UNUSED_PAD src0_sel:DWORD src1_sel:WORD_1
	s_waitcnt vmcnt(10)
	v_mul_f16_sdwa v187, v164, v131 dst_sel:DWORD dst_unused:UNUSED_PAD src0_sel:DWORD src1_sel:WORD_1
	v_mul_f16_sdwa v188, v32, v131 dst_sel:DWORD dst_unused:UNUSED_PAD src0_sel:DWORD src1_sel:WORD_1
	;; [unrolled: 3-line block ×12, first 2 shown]
	v_fma_f16 v31, v31, v136, -v185
	v_fmac_f16_e32 v186, v162, v136
	v_fma_f16 v32, v32, v131, -v187
	v_fmac_f16_e32 v188, v164, v131
	;; [unrolled: 2-line block ×12, first 2 shown]
	v_sub_f16_e32 v31, v29, v31
	v_sub_f16_e32 v162, v161, v186
	;; [unrolled: 1-line block ×24, first 2 shown]
	v_fma_f16 v29, v29, 2.0, -v31
	v_fma_f16 v161, v161, 2.0, -v162
	;; [unrolled: 1-line block ×8, first 2 shown]
	v_pack_b32_f16 v31, v31, v162
	v_fma_f16 v145, v145, 2.0, -v147
	v_fma_f16 v169, v169, 2.0, -v170
	;; [unrolled: 1-line block ×16, first 2 shown]
	v_pack_b32_f16 v29, v29, v161
	v_pack_b32_f16 v30, v30, v163
	;; [unrolled: 1-line block ×4, first 2 shown]
	ds_write_b32 v68, v31 offset:2496
	v_pack_b32_f16 v31, v33, v165
	v_pack_b32_f16 v33, v34, v167
	;; [unrolled: 1-line block ×19, first 2 shown]
	ds_write2_b32 v68, v29, v30 offset1:52
	ds_write2_b32 v140, v32, v35 offset0:164 offset1:216
	ds_write2_b32 v68, v31, v33 offset0:104 offset1:156
	;; [unrolled: 1-line block ×10, first 2 shown]
	ds_write_b32 v68, v160 offset:4784
	s_waitcnt lgkmcnt(0)
	s_barrier
	buffer_gl0_inv
	s_clause 0x1
	global_load_dword v33, v28, s[4:5]
	global_load_dword v34, v28, s[4:5] offset:208
	v_add_co_u32 v31, s0, s4, v28
	v_add_co_ci_u32_e64 v32, null, s5, 0, s0
	v_add_co_u32 v29, s0, 0x800, v31
	v_add_co_ci_u32_e64 v30, s0, 0, v32, s0
	v_add_co_u32 v31, s0, 0x1000, v31
	v_add_co_ci_u32_e64 v32, s0, 0, v32, s0
	s_clause 0x15
	global_load_dword v157, v[29:30], off offset:448
	global_load_dword v158, v[29:30], off offset:656
	global_load_dword v159, v28, s[4:5] offset:416
	global_load_dword v160, v[29:30], off offset:864
	global_load_dword v161, v28, s[4:5] offset:624
	;; [unrolled: 2-line block ×3, first 2 shown]
	global_load_dword v164, v28, s[4:5] offset:1040
	global_load_dword v165, v28, s[4:5] offset:1248
	global_load_dword v166, v37, s[4:5]
	global_load_dword v167, v[29:30], off offset:1488
	global_load_dword v168, v[29:30], off offset:1696
	global_load_dword v169, v28, s[4:5] offset:1456
	global_load_dword v170, v[29:30], off offset:1904
	global_load_dword v171, v28, s[4:5] offset:1664
	;; [unrolled: 2-line block ×3, first 2 shown]
	global_load_dword v174, v[31:32], off offset:272
	global_load_dword v175, v[29:30], off offset:32
	;; [unrolled: 1-line block ×5, first 2 shown]
	ds_read2_b32 v[28:29], v68 offset1:52
	s_waitcnt lgkmcnt(0)
	v_lshrrev_b32_e32 v30, 16, v28
	s_waitcnt vmcnt(23)
	v_mul_f16_sdwa v31, v30, v33 dst_sel:DWORD dst_unused:UNUSED_PAD src0_sel:DWORD src1_sel:WORD_1
	v_mul_f16_sdwa v32, v28, v33 dst_sel:DWORD dst_unused:UNUSED_PAD src0_sel:DWORD src1_sel:WORD_1
	s_waitcnt vmcnt(22)
	v_mul_f16_sdwa v35, v29, v34 dst_sel:DWORD dst_unused:UNUSED_PAD src0_sel:DWORD src1_sel:WORD_1
	v_fma_f16 v28, v28, v33, -v31
	v_fmac_f16_e32 v32, v30, v33
	v_lshrrev_b32_e32 v33, 16, v29
	v_pack_b32_f16 v28, v28, v32
	v_mul_f16_sdwa v32, v33, v34 dst_sel:DWORD dst_unused:UNUSED_PAD src0_sel:DWORD src1_sel:WORD_1
	v_fmac_f16_e32 v35, v33, v34
	ds_write_b32 v68, v28
	v_fma_f16 v36, v29, v34, -v32
	ds_read2_b32 v[30:31], v140 offset0:112 offset1:164
	ds_read2_b32 v[28:29], v68 offset0:104 offset1:156
	;; [unrolled: 1-line block ×3, first 2 shown]
	v_pack_b32_f16 v179, v36, v35
	ds_read2_b32 v[34:35], v141 offset0:80 offset1:132
	ds_read2_b32 v[36:37], v139 offset0:64 offset1:116
	;; [unrolled: 1-line block ×8, first 2 shown]
	s_waitcnt lgkmcnt(7)
	v_lshrrev_b32_e32 v192, 16, v34
	s_waitcnt vmcnt(15)
	v_mul_f16_sdwa v193, v34, v163 dst_sel:DWORD dst_unused:UNUSED_PAD src0_sel:DWORD src1_sel:WORD_1
	v_lshrrev_b32_e32 v180, 16, v30
	v_mul_f16_sdwa v181, v30, v157 dst_sel:DWORD dst_unused:UNUSED_PAD src0_sel:DWORD src1_sel:WORD_1
	v_lshrrev_b32_e32 v182, 16, v31
	;; [unrolled: 2-line block ×6, first 2 shown]
	v_mul_f16_sdwa v191, v33, v162 dst_sel:DWORD dst_unused:UNUSED_PAD src0_sel:DWORD src1_sel:WORD_1
	s_waitcnt lgkmcnt(6)
	v_lshrrev_b32_e32 v194, 16, v36
	s_waitcnt vmcnt(12)
	v_mul_f16_sdwa v195, v36, v166 dst_sel:DWORD dst_unused:UNUSED_PAD src0_sel:DWORD src1_sel:WORD_1
	v_lshrrev_b32_e32 v196, 16, v35
	v_mul_f16_sdwa v197, v35, v164 dst_sel:DWORD dst_unused:UNUSED_PAD src0_sel:DWORD src1_sel:WORD_1
	v_lshrrev_b32_e32 v198, 16, v37
	s_waitcnt vmcnt(11)
	v_mul_f16_sdwa v199, v37, v167 dst_sel:DWORD dst_unused:UNUSED_PAD src0_sel:DWORD src1_sel:WORD_1
	s_waitcnt lgkmcnt(5)
	v_lshrrev_b32_e32 v200, 16, v145
	v_mul_f16_sdwa v201, v145, v165 dst_sel:DWORD dst_unused:UNUSED_PAD src0_sel:DWORD src1_sel:WORD_1
	s_waitcnt lgkmcnt(4)
	v_lshrrev_b32_e32 v202, 16, v147
	s_waitcnt vmcnt(10)
	v_mul_f16_sdwa v203, v147, v168 dst_sel:DWORD dst_unused:UNUSED_PAD src0_sel:DWORD src1_sel:WORD_1
	v_lshrrev_b32_e32 v204, 16, v146
	s_waitcnt vmcnt(9)
	v_mul_f16_sdwa v205, v146, v169 dst_sel:DWORD dst_unused:UNUSED_PAD src0_sel:DWORD src1_sel:WORD_1
	;; [unrolled: 3-line block ×3, first 2 shown]
	s_waitcnt lgkmcnt(3)
	v_lshrrev_b32_e32 v208, 16, v149
	s_waitcnt vmcnt(7)
	v_mul_f16_sdwa v209, v149, v171 dst_sel:DWORD dst_unused:UNUSED_PAD src0_sel:DWORD src1_sel:WORD_1
	s_waitcnt lgkmcnt(2)
	v_lshrrev_b32_e32 v210, 16, v151
	s_waitcnt vmcnt(6)
	v_mul_f16_sdwa v211, v151, v172 dst_sel:DWORD dst_unused:UNUSED_PAD src0_sel:DWORD src1_sel:WORD_1
	v_lshrrev_b32_e32 v212, 16, v150
	s_waitcnt vmcnt(5)
	v_mul_f16_sdwa v213, v150, v173 dst_sel:DWORD dst_unused:UNUSED_PAD src0_sel:DWORD src1_sel:WORD_1
	;; [unrolled: 3-line block ×3, first 2 shown]
	s_waitcnt lgkmcnt(1)
	v_lshrrev_b32_e32 v216, 16, v153
	s_waitcnt vmcnt(3)
	v_mul_f16_sdwa v217, v153, v175 dst_sel:DWORD dst_unused:UNUSED_PAD src0_sel:DWORD src1_sel:WORD_1
	s_waitcnt lgkmcnt(0)
	v_lshrrev_b32_e32 v218, 16, v155
	s_waitcnt vmcnt(2)
	v_mul_f16_sdwa v219, v155, v176 dst_sel:DWORD dst_unused:UNUSED_PAD src0_sel:DWORD src1_sel:WORD_1
	v_lshrrev_b32_e32 v220, 16, v154
	s_waitcnt vmcnt(1)
	v_mul_f16_sdwa v221, v154, v177 dst_sel:DWORD dst_unused:UNUSED_PAD src0_sel:DWORD src1_sel:WORD_1
	v_lshrrev_b32_e32 v222, 16, v156
	v_mul_f16_sdwa v224, v180, v157 dst_sel:DWORD dst_unused:UNUSED_PAD src0_sel:DWORD src1_sel:WORD_1
	v_fmac_f16_e32 v181, v180, v157
	v_mul_f16_sdwa v180, v182, v158 dst_sel:DWORD dst_unused:UNUSED_PAD src0_sel:DWORD src1_sel:WORD_1
	v_fmac_f16_e32 v183, v182, v158
	v_mul_f16_sdwa v182, v184, v159 dst_sel:DWORD dst_unused:UNUSED_PAD src0_sel:DWORD src1_sel:WORD_1
	v_fmac_f16_e32 v185, v184, v159
	v_mul_f16_sdwa v184, v186, v160 dst_sel:DWORD dst_unused:UNUSED_PAD src0_sel:DWORD src1_sel:WORD_1
	v_fmac_f16_e32 v187, v186, v160
	v_mul_f16_sdwa v186, v188, v161 dst_sel:DWORD dst_unused:UNUSED_PAD src0_sel:DWORD src1_sel:WORD_1
	v_fmac_f16_e32 v189, v188, v161
	v_mul_f16_sdwa v188, v190, v162 dst_sel:DWORD dst_unused:UNUSED_PAD src0_sel:DWORD src1_sel:WORD_1
	v_fmac_f16_e32 v191, v190, v162
	v_mul_f16_sdwa v190, v192, v163 dst_sel:DWORD dst_unused:UNUSED_PAD src0_sel:DWORD src1_sel:WORD_1
	v_fmac_f16_e32 v193, v192, v163
	v_mul_f16_sdwa v192, v194, v166 dst_sel:DWORD dst_unused:UNUSED_PAD src0_sel:DWORD src1_sel:WORD_1
	s_waitcnt vmcnt(0)
	v_mul_f16_sdwa v223, v156, v178 dst_sel:DWORD dst_unused:UNUSED_PAD src0_sel:DWORD src1_sel:WORD_1
	v_fmac_f16_e32 v195, v194, v166
	v_mul_f16_sdwa v194, v196, v164 dst_sel:DWORD dst_unused:UNUSED_PAD src0_sel:DWORD src1_sel:WORD_1
	v_fmac_f16_e32 v197, v196, v164
	;; [unrolled: 2-line block ×14, first 2 shown]
	v_mul_f16_sdwa v220, v222, v178 dst_sel:DWORD dst_unused:UNUSED_PAD src0_sel:DWORD src1_sel:WORD_1
	v_fma_f16 v28, v28, v159, -v182
	v_fma_f16 v31, v31, v158, -v180
	;; [unrolled: 1-line block ×7, first 2 shown]
	v_fmac_f16_e32 v223, v222, v178
	v_fma_f16 v30, v30, v157, -v224
	v_fma_f16 v35, v35, v164, -v194
	;; [unrolled: 1-line block ×15, first 2 shown]
	v_pack_b32_f16 v28, v28, v185
	v_pack_b32_f16 v31, v31, v183
	;; [unrolled: 1-line block ×22, first 2 shown]
	ds_write2_b32 v68, v179, v28 offset0:52 offset1:104
	ds_write2_b32 v140, v31, v32 offset0:164 offset1:216
	;; [unrolled: 1-line block ×11, first 2 shown]
	ds_write_b32 v68, v156 offset:4784
	s_waitcnt lgkmcnt(0)
	s_barrier
	buffer_gl0_inv
	ds_read2_b32 v[28:29], v68 offset1:52
	ds_read2_b32 v[30:31], v140 offset0:112 offset1:164
	ds_read2_b32 v[32:33], v68 offset0:104 offset1:156
	;; [unrolled: 1-line block ×11, first 2 shown]
	s_waitcnt lgkmcnt(0)
	s_barrier
	buffer_gl0_inv
	v_pk_add_f16 v159, v28, v30 neg_lo:[0,1] neg_hi:[0,1]
	v_pk_add_f16 v30, v29, v31 neg_lo:[0,1] neg_hi:[0,1]
	;; [unrolled: 1-line block ×12, first 2 shown]
	v_pk_fma_f16 v158, v28, 2.0, v159 op_sel_hi:[1,0,1] neg_lo:[0,0,1] neg_hi:[0,0,1]
	v_pk_fma_f16 v29, v29, 2.0, v30 op_sel_hi:[1,0,1] neg_lo:[0,0,1] neg_hi:[0,0,1]
	;; [unrolled: 1-line block ×12, first 2 shown]
	ds_write_b64 v38, v[158:159]
	ds_write_b64 v45, v[29:30]
	;; [unrolled: 1-line block ×12, first 2 shown]
	s_waitcnt lgkmcnt(0)
	s_barrier
	buffer_gl0_inv
	ds_read2_b32 v[36:37], v68 offset1:52
	ds_read2_b32 v[28:29], v140 offset0:112 offset1:164
	ds_read2_b32 v[40:41], v68 offset0:104 offset1:156
	;; [unrolled: 1-line block ×11, first 2 shown]
	s_waitcnt lgkmcnt(0)
	s_barrier
	buffer_gl0_inv
	v_lshrrev_b32_e32 v13, 16, v36
	v_lshrrev_b32_e32 v27, 16, v28
	v_lshrrev_b32_e32 v48, 16, v29
	v_mul_f16_sdwa v169, v39, v28 dst_sel:DWORD dst_unused:UNUSED_PAD src0_sel:WORD_1 src1_sel:DWORD
	v_lshrrev_b32_e32 v147, 16, v30
	v_mul_f16_sdwa v170, v39, v29 dst_sel:DWORD dst_unused:UNUSED_PAD src0_sel:WORD_1 src1_sel:DWORD
	v_lshrrev_b32_e32 v150, 16, v31
	;; [unrolled: 2-line block ×3, first 2 shown]
	v_lshrrev_b32_e32 v156, 16, v33
	v_lshrrev_b32_e32 v158, 16, v34
	;; [unrolled: 1-line block ×3, first 2 shown]
	v_mul_f16_sdwa v172, v39, v31 dst_sel:DWORD dst_unused:UNUSED_PAD src0_sel:WORD_1 src1_sel:DWORD
	v_mul_f16_sdwa v173, v39, v32 dst_sel:DWORD dst_unused:UNUSED_PAD src0_sel:WORD_1 src1_sel:DWORD
	;; [unrolled: 1-line block ×4, first 2 shown]
	v_lshrrev_b32_e32 v162, 16, v77
	v_lshrrev_b32_e32 v164, 16, v78
	;; [unrolled: 1-line block ×4, first 2 shown]
	v_mul_f16_sdwa v176, v39, v35 dst_sel:DWORD dst_unused:UNUSED_PAD src0_sel:WORD_1 src1_sel:DWORD
	v_mul_f16_sdwa v177, v39, v77 dst_sel:DWORD dst_unused:UNUSED_PAD src0_sel:WORD_1 src1_sel:DWORD
	;; [unrolled: 1-line block ×5, first 2 shown]
	v_fma_f16 v27, v39, v27, -v169
	v_mul_f16_sdwa v169, v39, v48 dst_sel:DWORD dst_unused:UNUSED_PAD src0_sel:WORD_1 src1_sel:DWORD
	v_fma_f16 v48, v39, v48, -v170
	v_mul_f16_sdwa v170, v39, v147 dst_sel:DWORD dst_unused:UNUSED_PAD src0_sel:WORD_1 src1_sel:DWORD
	v_mul_f16_sdwa v180, v39, v146 dst_sel:DWORD dst_unused:UNUSED_PAD src0_sel:WORD_1 src1_sel:DWORD
	v_fma_f16 v147, v39, v147, -v171
	v_mul_f16_sdwa v171, v39, v150 dst_sel:DWORD dst_unused:UNUSED_PAD src0_sel:WORD_1 src1_sel:DWORD
	v_fma_f16 v150, v39, v150, -v172
	;; [unrolled: 2-line block ×5, first 2 shown]
	v_mul_f16_sdwa v175, v39, v160 dst_sel:DWORD dst_unused:UNUSED_PAD src0_sel:WORD_1 src1_sel:DWORD
	v_lshrrev_b32_e32 v152, 16, v42
	v_lshrrev_b32_e32 v153, 16, v43
	;; [unrolled: 1-line block ×4, first 2 shown]
	v_fma_f16 v160, v39, v160, -v176
	v_mul_f16_sdwa v176, v39, v162 dst_sel:DWORD dst_unused:UNUSED_PAD src0_sel:WORD_1 src1_sel:DWORD
	v_fma_f16 v162, v39, v162, -v177
	v_mul_f16_sdwa v177, v39, v164 dst_sel:DWORD dst_unused:UNUSED_PAD src0_sel:WORD_1 src1_sel:DWORD
	;; [unrolled: 2-line block ×4, first 2 shown]
	v_fmac_f16_e32 v181, v39, v28
	v_lshrrev_b32_e32 v38, 16, v37
	v_lshrrev_b32_e32 v148, 16, v40
	;; [unrolled: 1-line block ×3, first 2 shown]
	v_fmac_f16_e32 v169, v39, v29
	v_lshrrev_b32_e32 v163, 16, v47
	v_fmac_f16_e32 v170, v39, v30
	v_lshrrev_b32_e32 v149, 16, v41
	v_lshrrev_b32_e32 v167, 16, v155
	v_fma_f16 v168, v39, v168, -v180
	v_fmac_f16_e32 v171, v39, v31
	v_fmac_f16_e32 v172, v39, v32
	;; [unrolled: 1-line block ×5, first 2 shown]
	v_lshrrev_b32_e32 v165, 16, v154
	v_fmac_f16_e32 v176, v39, v77
	v_fmac_f16_e32 v177, v39, v78
	;; [unrolled: 1-line block ×4, first 2 shown]
	v_sub_f16_e32 v39, v13, v27
	v_sub_f16_e32 v183, v152, v151
	;; [unrolled: 1-line block ×20, first 2 shown]
	v_fma_f16 v160, v13, 2.0, -v39
	v_fma_f16 v173, v153, 2.0, -v156
	;; [unrolled: 1-line block ×3, first 2 shown]
	v_sub_f16_e32 v31, v46, v176
	v_sub_f16_e32 v29, v47, v177
	;; [unrolled: 1-line block ×4, first 2 shown]
	v_fma_f16 v159, v36, 2.0, -v158
	v_fma_f16 v38, v38, 2.0, -v48
	;; [unrolled: 1-line block ×21, first 2 shown]
	v_pack_b32_f16 v39, v158, v39
	v_pack_b32_f16 v159, v159, v160
	;; [unrolled: 1-line block ×24, first 2 shown]
	ds_write2_b32 v79, v159, v39 offset1:2
	ds_write2_b32 v80, v37, v45 offset1:2
	ds_write2_b32 v81, v38, v46 offset1:2
	ds_write2_b32 v82, v40, v47 offset1:2
	ds_write2_b32 v83, v41, v48 offset1:2
	ds_write2_b32 v84, v42, v154 offset1:2
	ds_write2_b32 v85, v43, v155 offset1:2
	ds_write2_b32 v86, v44, v156 offset1:2
	ds_write2_b32 v87, v157, v158 offset1:2
	ds_write2_b32 v88, v160, v161 offset1:2
	ds_write2_b32 v89, v164, v162 offset1:2
	ds_write2_b32 v90, v165, v163 offset1:2
	s_waitcnt lgkmcnt(0)
	s_barrier
	buffer_gl0_inv
	ds_read2_b32 v[37:38], v68 offset1:96
	ds_read2_b32 v[47:48], v141 offset0:64 offset1:160
	ds_read2_b32 v[45:46], v142 offset0:128 offset1:224
	;; [unrolled: 1-line block ×3, first 2 shown]
	ds_read2_b32 v[41:42], v139 offset1:96
	ds_read2_b32 v[39:40], v144 offset0:64 offset1:160
	ds_read_b32 v79, v68 offset:4608
	s_and_saveexec_b32 s0, vcc_lo
	s_cbranch_execz .LBB0_7
; %bb.6:
	ds_read2_b32 v[27:28], v68 offset0:52 offset1:148
	ds_read2_b32 v[35:36], v141 offset0:116 offset1:212
	ds_read2_b32 v[31:32], v143 offset0:52 offset1:148
	ds_read2_b32 v[29:30], v140 offset0:116 offset1:212
	ds_read2_b32 v[33:34], v139 offset0:52 offset1:148
	ds_read2_b32 v[13:14], v144 offset0:116 offset1:212
	ds_read_b32 v119, v68 offset:4816
	s_waitcnt lgkmcnt(6)
	v_lshrrev_b32_e32 v77, 16, v27
	v_lshrrev_b32_e32 v153, 16, v28
	s_waitcnt lgkmcnt(5)
	v_lshrrev_b32_e32 v151, 16, v35
	v_lshrrev_b32_e32 v152, 16, v36
	;; [unrolled: 3-line block ×6, first 2 shown]
	s_waitcnt lgkmcnt(0)
	v_lshrrev_b32_e32 v120, 16, v119
.LBB0_7:
	s_or_b32 exec_lo, exec_lo, s0
	s_waitcnt lgkmcnt(6)
	v_lshrrev_b32_e32 v80, 16, v38
	s_waitcnt lgkmcnt(5)
	v_lshrrev_b32_e32 v81, 16, v47
	v_lshrrev_b32_e32 v82, 16, v48
	v_mul_f16_sdwa v141, v4, v38 dst_sel:DWORD dst_unused:UNUSED_PAD src0_sel:WORD_1 src1_sel:DWORD
	v_mul_f16_sdwa v143, v5, v47 dst_sel:DWORD dst_unused:UNUSED_PAD src0_sel:WORD_1 src1_sel:DWORD
	;; [unrolled: 1-line block ×5, first 2 shown]
	s_waitcnt lgkmcnt(4)
	v_lshrrev_b32_e32 v83, 16, v45
	v_lshrrev_b32_e32 v84, 16, v46
	v_fmac_f16_e32 v139, v4, v38
	v_fma_f16 v38, v4, v80, -v141
	v_fma_f16 v80, v5, v81, -v143
	v_mul_f16_sdwa v81, v6, v48 dst_sel:DWORD dst_unused:UNUSED_PAD src0_sel:WORD_1 src1_sel:DWORD
	v_fmac_f16_e32 v144, v6, v48
	v_mul_f16_sdwa v48, v7, v45 dst_sel:DWORD dst_unused:UNUSED_PAD src0_sel:WORD_1 src1_sel:DWORD
	s_waitcnt lgkmcnt(3)
	v_lshrrev_b32_e32 v85, 16, v43
	v_fmac_f16_e32 v142, v5, v47
	v_fma_f16 v81, v6, v82, -v81
	v_mul_f16_sdwa v82, v0, v46 dst_sel:DWORD dst_unused:UNUSED_PAD src0_sel:WORD_1 src1_sel:DWORD
	v_mul_f16_sdwa v141, v7, v83 dst_sel:DWORD dst_unused:UNUSED_PAD src0_sel:WORD_1 src1_sel:DWORD
	;; [unrolled: 1-line block ×3, first 2 shown]
	v_fma_f16 v83, v7, v83, -v48
	v_lshrrev_b32_e32 v86, 16, v44
	v_fma_f16 v48, v0, v84, -v82
	v_add_f16_e32 v82, v37, v139
	v_add_f16_sdwa v84, v37, v38 dst_sel:DWORD dst_unused:UNUSED_PAD src0_sel:WORD_1 src1_sel:DWORD
	s_waitcnt lgkmcnt(2)
	v_lshrrev_b32_e32 v87, 16, v41
	v_fmac_f16_e32 v141, v7, v45
	v_fmac_f16_e32 v47, v0, v46
	v_mul_f16_sdwa v45, v1, v85 dst_sel:DWORD dst_unused:UNUSED_PAD src0_sel:WORD_1 src1_sel:DWORD
	v_mul_f16_sdwa v46, v1, v43 dst_sel:DWORD dst_unused:UNUSED_PAD src0_sel:WORD_1 src1_sel:DWORD
	v_add_f16_e32 v82, v82, v142
	v_add_f16_e32 v84, v84, v80
	v_mul_f16_sdwa v143, v3, v87 dst_sel:DWORD dst_unused:UNUSED_PAD src0_sel:WORD_1 src1_sel:DWORD
	v_fmac_f16_e32 v45, v1, v43
	v_mul_f16_sdwa v43, v2, v86 dst_sel:DWORD dst_unused:UNUSED_PAD src0_sel:WORD_1 src1_sel:DWORD
	v_fma_f16 v46, v1, v85, -v46
	v_mul_f16_sdwa v85, v2, v44 dst_sel:DWORD dst_unused:UNUSED_PAD src0_sel:WORD_1 src1_sel:DWORD
	v_add_f16_e32 v82, v82, v144
	v_add_f16_e32 v84, v84, v81
	v_lshrrev_b32_e32 v88, 16, v42
	v_fmac_f16_e32 v43, v2, v44
	v_fma_f16 v44, v2, v86, -v85
	v_mul_f16_sdwa v85, v3, v41 dst_sel:DWORD dst_unused:UNUSED_PAD src0_sel:WORD_1 src1_sel:DWORD
	v_fmac_f16_e32 v143, v3, v41
	v_add_f16_e32 v41, v82, v141
	v_add_f16_e32 v82, v84, v83
	s_waitcnt lgkmcnt(1)
	v_lshrrev_b32_e32 v89, 16, v39
	v_mul_f16_sdwa v84, v8, v88 dst_sel:DWORD dst_unused:UNUSED_PAD src0_sel:WORD_1 src1_sel:DWORD
	v_fma_f16 v85, v3, v87, -v85
	v_add_f16_e32 v41, v41, v47
	v_add_f16_e32 v82, v82, v48
	v_mul_f16_sdwa v86, v8, v42 dst_sel:DWORD dst_unused:UNUSED_PAD src0_sel:WORD_1 src1_sel:DWORD
	v_fmac_f16_e32 v84, v8, v42
	v_mul_f16_sdwa v42, v9, v89 dst_sel:DWORD dst_unused:UNUSED_PAD src0_sel:WORD_1 src1_sel:DWORD
	v_add_f16_e32 v41, v41, v45
	v_add_f16_e32 v82, v82, v46
	v_mul_f16_sdwa v87, v9, v39 dst_sel:DWORD dst_unused:UNUSED_PAD src0_sel:WORD_1 src1_sel:DWORD
	v_lshrrev_b32_e32 v90, 16, v40
	s_waitcnt lgkmcnt(0)
	v_lshrrev_b32_e32 v140, 16, v79
	v_fmac_f16_e32 v42, v9, v39
	v_add_f16_e32 v39, v41, v43
	v_add_f16_e32 v41, v82, v44
	v_fma_f16 v82, v9, v89, -v87
	v_mul_f16_sdwa v87, v11, v79 dst_sel:DWORD dst_unused:UNUSED_PAD src0_sel:WORD_1 src1_sel:DWORD
	v_fma_f16 v86, v8, v88, -v86
	v_mul_f16_sdwa v88, v10, v90 dst_sel:DWORD dst_unused:UNUSED_PAD src0_sel:WORD_1 src1_sel:DWORD
	v_add_f16_e32 v39, v39, v143
	v_add_f16_e32 v41, v41, v85
	v_mul_f16_sdwa v89, v11, v140 dst_sel:DWORD dst_unused:UNUSED_PAD src0_sel:WORD_1 src1_sel:DWORD
	v_fma_f16 v87, v11, v140, -v87
	v_fmac_f16_e32 v88, v10, v40
	v_mul_f16_sdwa v40, v10, v40 dst_sel:DWORD dst_unused:UNUSED_PAD src0_sel:WORD_1 src1_sel:DWORD
	v_add_f16_e32 v39, v39, v84
	v_add_f16_e32 v41, v41, v86
	v_fmac_f16_e32 v89, v11, v79
	v_sub_f16_e32 v79, v38, v87
	v_fma_f16 v40, v10, v90, -v40
	v_add_f16_e32 v39, v39, v42
	v_add_f16_e32 v41, v41, v82
	;; [unrolled: 1-line block ×3, first 2 shown]
	v_mul_f16_e32 v140, 0xb770, v79
	v_add_f16_e32 v154, v38, v87
	v_add_f16_e32 v38, v39, v88
	;; [unrolled: 1-line block ×3, first 2 shown]
	v_sub_f16_e32 v41, v139, v89
	v_fmamk_f16 v139, v90, 0x3b15, v140
	v_sub_f16_e32 v172, v80, v40
	v_mul_f16_e32 v155, 0x3b15, v154
	v_add_f16_e32 v39, v39, v87
	v_mul_f16_e32 v156, 0x388b, v154
	v_add_f16_e32 v87, v37, v139
	v_mul_f16_e32 v139, 0xba95, v79
	v_mul_f16_e32 v159, 0xbbf1, v79
	;; [unrolled: 1-line block ×9, first 2 shown]
	v_add_f16_e32 v174, v142, v88
	v_mul_f16_e32 v175, 0xba95, v172
	v_add_f16_e32 v40, v80, v40
	v_add_f16_e32 v38, v38, v89
	v_fmamk_f16 v89, v41, 0x3770, v155
	v_fma_f16 v140, v90, 0x3b15, -v140
	v_fmac_f16_e32 v155, 0xb770, v41
	v_fmamk_f16 v157, v90, 0x388b, v139
	v_fmamk_f16 v158, v41, 0x3a95, v156
	v_fma_f16 v139, v90, 0x388b, -v139
	v_fmac_f16_e32 v156, 0xba95, v41
	v_fmamk_f16 v160, v90, 0x2fb7, v159
	;; [unrolled: 4-line block ×5, first 2 shown]
	v_fmamk_f16 v173, v41, 0x33a8, v154
	v_fma_f16 v79, v90, 0xbbc4, -v79
	v_fmac_f16_e32 v154, 0xb3a8, v41
	v_sub_f16_e32 v41, v142, v88
	v_fmamk_f16 v80, v174, 0x388b, v175
	v_mul_f16_e32 v88, 0x388b, v40
	v_add_f16_sdwa v89, v37, v89 dst_sel:DWORD dst_unused:UNUSED_PAD src0_sel:WORD_1 src1_sel:DWORD
	v_add_f16_e32 v140, v37, v140
	v_add_f16_sdwa v155, v37, v155 dst_sel:DWORD dst_unused:UNUSED_PAD src0_sel:WORD_1 src1_sel:DWORD
	v_add_f16_e32 v157, v37, v157
	v_add_f16_sdwa v158, v37, v158 dst_sel:DWORD dst_unused:UNUSED_PAD src0_sel:WORD_1 src1_sel:DWORD
	v_add_f16_e32 v139, v37, v139
	v_add_f16_sdwa v156, v37, v156 dst_sel:DWORD dst_unused:UNUSED_PAD src0_sel:WORD_1 src1_sel:DWORD
	v_add_f16_e32 v160, v37, v160
	v_add_f16_sdwa v163, v37, v163 dst_sel:DWORD dst_unused:UNUSED_PAD src0_sel:WORD_1 src1_sel:DWORD
	v_add_f16_e32 v159, v37, v159
	v_add_f16_sdwa v161, v37, v161 dst_sel:DWORD dst_unused:UNUSED_PAD src0_sel:WORD_1 src1_sel:DWORD
	v_add_f16_e32 v164, v37, v164
	v_add_f16_sdwa v166, v37, v166 dst_sel:DWORD dst_unused:UNUSED_PAD src0_sel:WORD_1 src1_sel:DWORD
	v_add_f16_e32 v162, v37, v162
	v_add_f16_sdwa v165, v37, v165 dst_sel:DWORD dst_unused:UNUSED_PAD src0_sel:WORD_1 src1_sel:DWORD
	v_add_f16_e32 v169, v37, v169
	v_add_f16_sdwa v170, v37, v170 dst_sel:DWORD dst_unused:UNUSED_PAD src0_sel:WORD_1 src1_sel:DWORD
	v_add_f16_e32 v167, v37, v167
	v_add_f16_sdwa v168, v37, v168 dst_sel:DWORD dst_unused:UNUSED_PAD src0_sel:WORD_1 src1_sel:DWORD
	v_add_f16_e32 v171, v37, v171
	v_add_f16_sdwa v90, v37, v173 dst_sel:DWORD dst_unused:UNUSED_PAD src0_sel:WORD_1 src1_sel:DWORD
	v_add_f16_e32 v79, v37, v79
	v_add_f16_sdwa v37, v37, v154 dst_sel:DWORD dst_unused:UNUSED_PAD src0_sel:WORD_1 src1_sel:DWORD
	v_add_f16_e32 v80, v80, v87
	v_fmamk_f16 v87, v41, 0x3a95, v88
	v_mul_f16_e32 v142, 0xbb7b, v172
	v_fma_f16 v154, v174, 0x388b, -v175
	v_fmac_f16_e32 v88, 0xba95, v41
	v_mul_f16_e32 v173, 0xb5ac, v40
	v_add_f16_e32 v87, v87, v89
	v_fmamk_f16 v89, v174, 0xb5ac, v142
	v_add_f16_e32 v140, v154, v140
	v_add_f16_e32 v88, v88, v155
	v_fmamk_f16 v154, v41, 0x3b7b, v173
	v_mul_f16_e32 v155, 0xb3a8, v172
	v_add_f16_e32 v89, v89, v157
	v_fma_f16 v142, v174, 0xb5ac, -v142
	v_fmac_f16_e32 v173, 0xbb7b, v41
	v_add_f16_e32 v154, v154, v158
	v_fmamk_f16 v157, v174, 0xbbc4, v155
	v_mul_f16_e32 v158, 0xbbc4, v40
	v_add_f16_e32 v139, v142, v139
	v_add_f16_e32 v142, v173, v156
	v_mul_f16_e32 v156, 0x394e, v172
	v_add_f16_e32 v157, v157, v160
	v_fmamk_f16 v160, v41, 0x33a8, v158
	v_fmac_f16_e32 v158, 0xb3a8, v41
	v_mul_f16_e32 v175, 0xb9fd, v40
	v_fma_f16 v155, v174, 0xbbc4, -v155
	v_fmamk_f16 v173, v174, 0xb9fd, v156
	v_add_f16_e32 v160, v160, v163
	v_add_f16_e32 v158, v158, v161
	v_fmamk_f16 v161, v41, 0xb94e, v175
	v_mul_f16_e32 v163, 0x3bf1, v172
	v_add_f16_e32 v155, v155, v159
	v_add_f16_e32 v159, v173, v164
	v_fma_f16 v156, v174, 0xb9fd, -v156
	v_mul_f16_e32 v164, 0x2fb7, v40
	v_add_f16_e32 v161, v161, v166
	v_fmamk_f16 v166, v174, 0x2fb7, v163
	v_mul_f16_e32 v172, 0x3770, v172
	v_fma_f16 v163, v174, 0x2fb7, -v163
	v_add_f16_e32 v156, v156, v162
	v_fmamk_f16 v162, v41, 0xbbf1, v164
	v_add_f16_e32 v166, v166, v169
	v_fmac_f16_e32 v164, 0x3bf1, v41
	v_fmamk_f16 v169, v174, 0x3b15, v172
	v_add_f16_e32 v163, v163, v167
	v_sub_f16_e32 v167, v81, v82
	v_add_f16_e32 v162, v162, v170
	v_mul_f16_e32 v40, 0x3b15, v40
	v_add_f16_e32 v164, v164, v168
	v_add_f16_e32 v168, v169, v171
	;; [unrolled: 1-line block ×3, first 2 shown]
	v_mul_f16_e32 v171, 0xbbf1, v167
	v_add_f16_e32 v81, v81, v82
	v_fmac_f16_e32 v175, 0x394e, v41
	v_fmamk_f16 v169, v41, 0xb770, v40
	v_fma_f16 v82, v174, 0x3b15, -v172
	v_fmac_f16_e32 v40, 0x3770, v41
	v_sub_f16_e32 v41, v144, v42
	v_fmamk_f16 v42, v170, 0x2fb7, v171
	v_mul_f16_e32 v144, 0x2fb7, v81
	v_add_f16_e32 v90, v169, v90
	v_add_f16_e32 v79, v82, v79
	;; [unrolled: 1-line block ×4, first 2 shown]
	v_fmamk_f16 v42, v41, 0x3bf1, v144
	v_mul_f16_e32 v80, 0xb3a8, v167
	v_fma_f16 v82, v170, 0x2fb7, -v171
	v_fmac_f16_e32 v144, 0xbbf1, v41
	v_mul_f16_e32 v169, 0xbbc4, v81
	v_add_f16_e32 v42, v42, v87
	v_fmamk_f16 v87, v170, 0xbbc4, v80
	v_add_f16_e32 v82, v82, v140
	v_add_f16_e32 v88, v144, v88
	v_fmamk_f16 v140, v41, 0x33a8, v169
	v_mul_f16_e32 v144, 0x3b7b, v167
	v_fma_f16 v80, v170, 0xbbc4, -v80
	v_fmac_f16_e32 v169, 0xb3a8, v41
	v_add_f16_e32 v87, v87, v89
	v_add_f16_e32 v89, v140, v154
	v_fmamk_f16 v140, v170, 0xb5ac, v144
	v_mul_f16_e32 v154, 0xb5ac, v81
	v_add_f16_e32 v80, v80, v139
	v_add_f16_e32 v139, v169, v142
	v_mul_f16_e32 v142, 0x3770, v167
	v_add_f16_e32 v140, v140, v157
	v_fmamk_f16 v157, v41, 0xbb7b, v154
	v_fma_f16 v144, v170, 0xb5ac, -v144
	v_fmac_f16_e32 v154, 0x3b7b, v41
	v_fmamk_f16 v169, v170, 0x3b15, v142
	v_mul_f16_e32 v171, 0x3b15, v81
	v_add_f16_e32 v157, v157, v160
	v_add_f16_e32 v144, v144, v155
	;; [unrolled: 1-line block ×4, first 2 shown]
	v_fmamk_f16 v158, v41, 0xb770, v171
	v_mul_f16_e32 v159, 0xba95, v167
	v_fma_f16 v142, v170, 0x3b15, -v142
	v_mul_f16_e32 v160, 0x388b, v81
	v_mul_f16_e32 v167, 0xb94e, v167
	v_add_f16_e32 v158, v158, v161
	v_fmamk_f16 v161, v170, 0x388b, v159
	v_add_f16_e32 v142, v142, v156
	v_fmamk_f16 v156, v41, 0x3a95, v160
	v_fma_f16 v159, v170, 0x388b, -v159
	v_fmac_f16_e32 v160, 0xba95, v41
	v_add_f16_e32 v161, v161, v166
	v_mul_f16_e32 v81, 0xb9fd, v81
	v_add_f16_e32 v156, v156, v162
	v_fmamk_f16 v162, v170, 0xb9fd, v167
	v_add_f16_e32 v159, v159, v163
	v_sub_f16_e32 v163, v83, v86
	v_add_f16_e32 v166, v141, v84
	v_add_f16_e32 v83, v83, v86
	;; [unrolled: 1-line block ×3, first 2 shown]
	v_fmac_f16_e32 v171, 0x3770, v41
	v_mul_f16_e32 v168, 0xbb7b, v163
	v_add_f16_e32 v160, v160, v164
	v_fmamk_f16 v164, v41, 0x394e, v81
	v_fma_f16 v86, v170, 0xb9fd, -v167
	v_fmac_f16_e32 v81, 0xb94e, v41
	v_sub_f16_e32 v41, v141, v84
	v_fmamk_f16 v84, v166, 0xb5ac, v168
	v_mul_f16_e32 v141, 0xb5ac, v83
	v_add_f16_e32 v90, v164, v90
	v_add_f16_e32 v79, v86, v79
	;; [unrolled: 1-line block ×4, first 2 shown]
	v_fmamk_f16 v81, v41, 0x3b7b, v141
	v_mul_f16_e32 v84, 0x394e, v163
	v_fma_f16 v86, v166, 0xb5ac, -v168
	v_fmac_f16_e32 v141, 0xbb7b, v41
	v_mul_f16_e32 v164, 0xb9fd, v83
	v_add_f16_e32 v42, v81, v42
	v_fmamk_f16 v81, v166, 0xb9fd, v84
	v_add_f16_e32 v82, v86, v82
	v_add_f16_e32 v86, v141, v88
	v_fmamk_f16 v88, v41, 0xb94e, v164
	v_mul_f16_e32 v141, 0x3770, v163
	v_fma_f16 v84, v166, 0xb9fd, -v84
	v_fmac_f16_e32 v164, 0x394e, v41
	v_add_f16_e32 v81, v81, v87
	v_add_f16_e32 v87, v88, v89
	v_fmamk_f16 v88, v166, 0x3b15, v141
	v_mul_f16_e32 v89, 0x3b15, v83
	v_add_f16_e32 v80, v84, v80
	v_add_f16_e32 v84, v164, v139
	v_mul_f16_e32 v139, 0xbbf1, v163
	v_add_f16_e32 v88, v88, v140
	v_fmamk_f16 v140, v41, 0xb770, v89
	v_fma_f16 v141, v166, 0x3b15, -v141
	v_fmac_f16_e32 v89, 0x3770, v41
	v_fmamk_f16 v164, v166, 0x2fb7, v139
	v_mul_f16_e32 v167, 0x2fb7, v83
	v_add_f16_e32 v140, v140, v157
	v_add_f16_e32 v141, v141, v144
	;; [unrolled: 1-line block ×4, first 2 shown]
	v_fmamk_f16 v154, v41, 0x3bf1, v167
	v_mul_f16_e32 v155, 0x33a8, v163
	v_fma_f16 v139, v166, 0x2fb7, -v139
	v_mul_f16_e32 v157, 0xbbc4, v83
	v_mul_f16_e32 v163, 0x3a95, v163
	v_add_f16_e32 v154, v154, v158
	v_fmamk_f16 v158, v166, 0xbbc4, v155
	v_add_f16_e32 v139, v139, v142
	v_fmamk_f16 v142, v41, 0xb3a8, v157
	v_fma_f16 v155, v166, 0xbbc4, -v155
	v_fmac_f16_e32 v157, 0x33a8, v41
	v_add_f16_e32 v158, v158, v161
	v_mul_f16_e32 v83, 0x388b, v83
	v_add_f16_e32 v142, v142, v156
	v_fmamk_f16 v156, v166, 0x388b, v163
	v_add_f16_e32 v155, v155, v159
	v_sub_f16_e32 v159, v48, v85
	v_add_f16_e32 v161, v47, v143
	v_add_f16_e32 v48, v48, v85
	;; [unrolled: 1-line block ×3, first 2 shown]
	v_fmac_f16_e32 v167, 0xbbf1, v41
	v_mul_f16_e32 v162, 0xb94e, v159
	v_add_f16_e32 v157, v157, v160
	v_fmamk_f16 v160, v41, 0xba95, v83
	v_fma_f16 v85, v166, 0x388b, -v163
	v_fmac_f16_e32 v83, 0x3a95, v41
	v_sub_f16_e32 v41, v47, v143
	v_fmamk_f16 v47, v161, 0xb9fd, v162
	v_mul_f16_e32 v143, 0xb9fd, v48
	v_add_f16_e32 v90, v160, v90
	v_add_f16_e32 v79, v85, v79
	;; [unrolled: 1-line block ×4, first 2 shown]
	v_fmamk_f16 v47, v41, 0x394e, v143
	v_mul_f16_e32 v83, 0x3bf1, v159
	v_fma_f16 v85, v161, 0xb9fd, -v162
	v_fmac_f16_e32 v143, 0xb94e, v41
	v_mul_f16_e32 v160, 0x2fb7, v48
	v_add_f16_e32 v42, v47, v42
	v_fmamk_f16 v47, v161, 0x2fb7, v83
	v_add_f16_e32 v82, v85, v82
	v_add_f16_e32 v85, v143, v86
	v_fmamk_f16 v86, v41, 0xbbf1, v160
	v_mul_f16_e32 v143, 0xba95, v159
	v_add_f16_e32 v47, v47, v81
	v_fma_f16 v81, v161, 0x2fb7, -v83
	v_fmac_f16_e32 v160, 0x3bf1, v41
	v_add_f16_e32 v83, v86, v87
	v_fmamk_f16 v86, v161, 0x388b, v143
	v_mul_f16_e32 v87, 0x388b, v48
	v_add_f16_e32 v80, v81, v80
	v_add_f16_e32 v81, v160, v84
	v_mul_f16_e32 v84, 0x33a8, v159
	v_add_f16_e32 v86, v86, v88
	v_fmamk_f16 v88, v41, 0x3a95, v87
	v_fma_f16 v143, v161, 0x388b, -v143
	v_mul_f16_e32 v162, 0xbbc4, v48
	v_fmac_f16_e32 v87, 0xba95, v41
	v_fmamk_f16 v160, v161, 0xbbc4, v84
	v_add_f16_e32 v88, v88, v140
	v_add_f16_e32 v140, v143, v141
	v_fmamk_f16 v141, v41, 0xb3a8, v162
	v_mul_f16_e32 v143, 0x3770, v159
	v_add_f16_e32 v87, v87, v89
	v_add_f16_e32 v89, v160, v144
	v_fma_f16 v84, v161, 0xbbc4, -v84
	v_mul_f16_e32 v144, 0x3b15, v48
	v_add_f16_e32 v141, v141, v154
	v_fmamk_f16 v154, v161, 0x3b15, v143
	v_fma_f16 v143, v161, 0x3b15, -v143
	v_add_f16_e32 v84, v84, v139
	v_fmamk_f16 v139, v41, 0xb770, v144
	v_mul_f16_e32 v159, 0xbb7b, v159
	v_fmac_f16_e32 v144, 0x3770, v41
	v_add_f16_e32 v143, v143, v155
	v_sub_f16_e32 v155, v46, v44
	v_add_f16_e32 v154, v154, v158
	v_add_f16_e32 v139, v139, v142
	v_fmamk_f16 v142, v161, 0xb5ac, v159
	v_mul_f16_e32 v48, 0xb5ac, v48
	v_add_f16_e32 v144, v144, v157
	v_add_f16_e32 v157, v45, v43
	v_mul_f16_e32 v158, 0xb3a8, v155
	v_add_f16_e32 v44, v46, v44
	v_fmac_f16_e32 v162, 0x33a8, v41
	v_add_f16_e32 v142, v142, v156
	v_fmamk_f16 v156, v41, 0x3b7b, v48
	v_fmac_f16_e32 v48, 0xbb7b, v41
	v_sub_f16_e32 v41, v45, v43
	v_fmamk_f16 v43, v157, 0xbbc4, v158
	v_mul_f16_e32 v45, 0xbbc4, v44
	v_fma_f16 v46, v161, 0xb5ac, -v159
	v_add_f16_e32 v37, v48, v37
	v_mul_f16_e32 v48, 0x3770, v155
	v_add_f16_e32 v40, v43, v40
	v_fmamk_f16 v43, v41, 0x33a8, v45
	v_add_f16_e32 v90, v156, v90
	v_add_f16_e32 v46, v46, v79
	v_fma_f16 v79, v157, 0xbbc4, -v158
	v_fmac_f16_e32 v45, 0xb3a8, v41
	v_mul_f16_e32 v156, 0x3b15, v44
	v_add_f16_e32 v42, v43, v42
	v_fmamk_f16 v43, v157, 0x3b15, v48
	v_add_f16_e32 v79, v79, v82
	v_add_f16_e32 v45, v45, v85
	v_fmamk_f16 v82, v41, 0xb770, v156
	v_mul_f16_e32 v85, 0xb94e, v155
	v_add_f16_e32 v43, v43, v47
	v_fma_f16 v47, v157, 0x3b15, -v48
	v_fmac_f16_e32 v156, 0x3770, v41
	v_add_f16_e32 v48, v82, v83
	v_fmamk_f16 v82, v157, 0xb9fd, v85
	v_mul_f16_e32 v83, 0xb9fd, v44
	v_add_f16_e32 v47, v47, v80
	v_add_f16_e32 v80, v156, v81
	v_mul_f16_e32 v81, 0x3a95, v155
	v_add_f16_e32 v82, v82, v86
	v_fmamk_f16 v86, v41, 0x394e, v83
	v_fmac_f16_e32 v83, 0xb94e, v41
	v_mul_f16_e32 v158, 0x388b, v44
	v_fmamk_f16 v156, v157, 0x388b, v81
	v_add_f16_e32 v165, v175, v165
	v_add_f16_e32 v86, v86, v88
	;; [unrolled: 1-line block ×3, first 2 shown]
	v_fmamk_f16 v88, v41, 0xba95, v158
	v_add_f16_e32 v87, v156, v89
	v_mul_f16_e32 v89, 0xbb7b, v155
	v_fma_f16 v85, v157, 0xb9fd, -v85
	v_add_f16_e32 v165, v171, v165
	v_add_f16_e32 v88, v88, v141
	v_fma_f16 v81, v157, 0x388b, -v81
	v_fmamk_f16 v141, v157, 0xb5ac, v89
	v_add_f16_e32 v85, v85, v140
	v_mul_f16_e32 v140, 0xb5ac, v44
	v_fma_f16 v89, v157, 0xb5ac, -v89
	v_mul_f16_e32 v44, 0x2fb7, v44
	v_add_f16_e32 v141, v141, v154
	v_mul_f16_e32 v154, 0x3bf1, v155
	v_add_f16_e32 v164, v167, v165
	v_fmamk_f16 v156, v41, 0x3b7b, v140
	v_add_f16_e32 v89, v89, v143
	v_fmac_f16_e32 v140, 0xbb7b, v41
	v_fmamk_f16 v143, v157, 0x2fb7, v154
	v_fmamk_f16 v155, v41, 0xbbf1, v44
	v_fma_f16 v154, v157, 0x2fb7, -v154
	v_fmac_f16_e32 v44, 0x3bf1, v41
	v_add_f16_e32 v160, v162, v164
	v_fmac_f16_e32 v158, 0x3a95, v41
	v_add_f16_e32 v139, v156, v139
	v_pack_b32_f16 v38, v38, v39
	v_pack_b32_f16 v39, v40, v42
	v_add_f16_e32 v41, v140, v144
	v_add_f16_e32 v140, v143, v142
	;; [unrolled: 1-line block ×5, first 2 shown]
	v_pack_b32_f16 v40, v43, v48
	v_pack_b32_f16 v42, v82, v86
	v_add_f16_e32 v81, v81, v84
	v_add_f16_e32 v84, v158, v160
	s_barrier
	buffer_gl0_inv
	ds_write2_b32 v117, v38, v39 offset1:4
	ds_write2_b32 v117, v40, v42 offset0:8 offset1:12
	v_pack_b32_f16 v38, v87, v88
	v_pack_b32_f16 v39, v141, v139
	;; [unrolled: 1-line block ×9, first 2 shown]
	ds_write2_b32 v117, v38, v39 offset0:16 offset1:20
	ds_write2_b32 v117, v40, v37 offset0:24 offset1:28
	;; [unrolled: 1-line block ×4, first 2 shown]
	ds_write_b32 v117, v45 offset:192
	s_and_saveexec_b32 s0, vcc_lo
	s_cbranch_execz .LBB0_9
; %bb.8:
	v_mul_f16_sdwa v39, v4, v153 dst_sel:DWORD dst_unused:UNUSED_PAD src0_sel:WORD_1 src1_sel:DWORD
	v_mul_f16_sdwa v37, v11, v120 dst_sel:DWORD dst_unused:UNUSED_PAD src0_sel:WORD_1 src1_sel:DWORD
	;; [unrolled: 1-line block ×5, first 2 shown]
	v_fmac_f16_e32 v39, v4, v28
	v_fmac_f16_e32 v37, v11, v119
	v_mul_f16_sdwa v38, v10, v118 dst_sel:DWORD dst_unused:UNUSED_PAD src0_sel:WORD_1 src1_sel:DWORD
	v_fma_f16 v11, v11, v120, -v40
	v_fma_f16 v40, v4, v153, -v42
	v_mul_f16_sdwa v42, v10, v14 dst_sel:DWORD dst_unused:UNUSED_PAD src0_sel:WORD_1 src1_sel:DWORD
	v_sub_f16_e32 v28, v39, v37
	v_fmac_f16_e32 v41, v5, v35
	v_fmac_f16_e32 v38, v10, v14
	v_mul_f16_sdwa v43, v5, v35 dst_sel:DWORD dst_unused:UNUSED_PAD src0_sel:WORD_1 src1_sel:DWORD
	v_mul_f16_sdwa v35, v6, v152 dst_sel:DWORD dst_unused:UNUSED_PAD src0_sel:WORD_1 src1_sel:DWORD
	;; [unrolled: 1-line block ×3, first 2 shown]
	v_add_f16_e32 v80, v11, v40
	v_mul_f16_e32 v140, 0xbbf1, v28
	v_sub_f16_e32 v4, v41, v38
	v_fma_f16 v10, v10, v118, -v42
	v_fma_f16 v42, v5, v151, -v43
	v_fmac_f16_e32 v35, v6, v36
	v_fmac_f16_e32 v14, v9, v13
	v_mul_f16_sdwa v13, v9, v13 dst_sel:DWORD dst_unused:UNUSED_PAD src0_sel:WORD_1 src1_sel:DWORD
	v_mul_f16_sdwa v36, v6, v36 dst_sel:DWORD dst_unused:UNUSED_PAD src0_sel:WORD_1 src1_sel:DWORD
	v_fmamk_f16 v44, v80, 0x2fb7, v140
	v_mul_f16_e32 v141, 0xb3a8, v4
	v_add_f16_e32 v81, v10, v42
	v_sub_f16_e32 v5, v35, v14
	v_fma_f16 v9, v9, v150, -v13
	v_fma_f16 v36, v6, v152, -v36
	v_add_f16_e32 v6, v77, v44
	v_fmamk_f16 v13, v81, 0xbbc4, v141
	v_mul_f16_e32 v142, 0x3b7b, v5
	v_mul_f16_sdwa v43, v7, v147 dst_sel:DWORD dst_unused:UNUSED_PAD src0_sel:WORD_1 src1_sel:DWORD
	v_add_f16_e32 v82, v9, v36
	v_mul_f16_sdwa v46, v7, v31 dst_sel:DWORD dst_unused:UNUSED_PAD src0_sel:WORD_1 src1_sel:DWORD
	v_add_f16_e32 v6, v13, v6
	v_mul_f16_sdwa v13, v8, v149 dst_sel:DWORD dst_unused:UNUSED_PAD src0_sel:WORD_1 src1_sel:DWORD
	v_fmac_f16_e32 v43, v7, v31
	v_fmamk_f16 v44, v82, 0xb5ac, v142
	v_mul_f16_sdwa v45, v0, v148 dst_sel:DWORD dst_unused:UNUSED_PAD src0_sel:WORD_1 src1_sel:DWORD
	v_fma_f16 v46, v7, v147, -v46
	v_fmac_f16_e32 v13, v8, v34
	v_sub_f16_e32 v90, v40, v11
	v_add_f16_e32 v83, v44, v6
	v_mul_f16_sdwa v44, v8, v34 dst_sel:DWORD dst_unused:UNUSED_PAD src0_sel:WORD_1 src1_sel:DWORD
	v_mul_f16_sdwa v34, v3, v146 dst_sel:DWORD dst_unused:UNUSED_PAD src0_sel:WORD_1 src1_sel:DWORD
	v_sub_f16_e32 v6, v43, v13
	v_fmac_f16_e32 v45, v0, v32
	v_mul_f16_sdwa v32, v0, v32 dst_sel:DWORD dst_unused:UNUSED_PAD src0_sel:WORD_1 src1_sel:DWORD
	v_fma_f16 v31, v8, v149, -v44
	v_fmac_f16_e32 v34, v3, v33
	v_mul_f16_sdwa v8, v3, v33 dst_sel:DWORD dst_unused:UNUSED_PAD src0_sel:WORD_1 src1_sel:DWORD
	v_mul_f16_e32 v143, 0x3770, v6
	v_fma_f16 v47, v0, v148, -v32
	v_add_f16_e32 v118, v31, v46
	v_sub_f16_e32 v7, v45, v34
	v_fma_f16 v44, v3, v146, -v8
	v_add_f16_e32 v3, v37, v39
	v_mul_f16_e32 v146, 0xbbf1, v90
	v_fmamk_f16 v0, v118, 0x3b15, v143
	v_mul_f16_e32 v144, 0xba95, v7
	v_add_f16_e32 v85, v44, v47
	v_sub_f16_e32 v86, v42, v10
	v_mul_f16_sdwa v79, v1, v78 dst_sel:DWORD dst_unused:UNUSED_PAD src0_sel:WORD_1 src1_sel:DWORD
	v_add_f16_e32 v8, v0, v83
	v_mul_f16_sdwa v48, v2, v145 dst_sel:DWORD dst_unused:UNUSED_PAD src0_sel:WORD_1 src1_sel:DWORD
	v_fmamk_f16 v32, v85, 0x388b, v144
	v_fma_f16 v33, v3, 0x2fb7, -v146
	v_mul_f16_e32 v148, 0xb3a8, v86
	v_sub_f16_e32 v88, v36, v9
	v_fmac_f16_e32 v79, v1, v29
	v_add_f16_e32 v32, v32, v8
	v_add_f16_e32 v8, v38, v41
	v_fmac_f16_e32 v48, v2, v30
	v_mul_f16_sdwa v30, v2, v30 dst_sel:DWORD dst_unused:UNUSED_PAD src0_sel:WORD_1 src1_sel:DWORD
	v_mul_f16_sdwa v83, v1, v29 dst_sel:DWORD dst_unused:UNUSED_PAD src0_sel:WORD_1 src1_sel:DWORD
	v_add_f16_e32 v33, v27, v33
	v_fma_f16 v117, v8, 0xbbc4, -v148
	v_add_f16_e32 v29, v14, v35
	v_mul_f16_e32 v149, 0x3b7b, v88
	v_sub_f16_e32 v89, v46, v31
	v_sub_f16_e32 v0, v79, v48
	v_fma_f16 v84, v2, v145, -v30
	v_fma_f16 v87, v1, v78, -v83
	v_add_f16_e32 v1, v117, v33
	v_fma_f16 v30, v29, 0xb5ac, -v149
	v_add_f16_e32 v2, v13, v43
	v_mul_f16_e32 v145, 0x3770, v89
	v_sub_f16_e32 v117, v47, v44
	v_mul_f16_e32 v147, 0xb94e, v0
	v_add_f16_e32 v119, v84, v87
	v_mul_f16_e32 v150, 0xbb7b, v28
	v_add_f16_e32 v1, v30, v1
	v_fma_f16 v33, v2, 0x3b15, -v145
	v_add_f16_e32 v30, v34, v45
	v_mul_f16_e32 v151, 0xba95, v117
	v_fmamk_f16 v78, v80, 0xb5ac, v150
	v_mul_f16_e32 v152, 0x394e, v4
	v_fmamk_f16 v83, v119, 0xb9fd, v147
	v_add_f16_e32 v33, v33, v1
	v_fma_f16 v120, v30, 0x388b, -v151
	v_add_f16_e32 v78, v77, v78
	v_fmamk_f16 v139, v81, 0xb9fd, v152
	v_mul_f16_e32 v153, 0x3770, v5
	v_add_f16_e32 v1, v83, v32
	v_add_f16_e32 v32, v120, v33
	v_sub_f16_e32 v120, v87, v84
	v_add_f16_e32 v78, v139, v78
	v_fmamk_f16 v83, v82, 0x3b15, v153
	v_mul_f16_e32 v154, 0xbbf1, v6
	v_add_f16_e32 v33, v48, v79
	v_mul_f16_e32 v155, 0xb94e, v120
	v_mul_f16_e32 v156, 0xbb7b, v90
	v_add_f16_e32 v78, v83, v78
	v_fmamk_f16 v83, v118, 0x2fb7, v154
	v_mul_f16_e32 v157, 0x33a8, v7
	v_fma_f16 v139, v33, 0xb9fd, -v155
	v_fma_f16 v158, v3, 0xb5ac, -v156
	v_mul_f16_e32 v159, 0x394e, v86
	v_add_f16_e32 v78, v83, v78
	v_fmamk_f16 v83, v85, 0xbbc4, v157
	v_add_f16_e32 v32, v139, v32
	v_add_f16_e32 v139, v27, v158
	v_fma_f16 v158, v8, 0xb9fd, -v159
	v_mul_f16_e32 v160, 0x3770, v88
	v_add_f16_e32 v78, v83, v78
	v_mul_f16_e32 v166, 0x33a8, v117
	v_fma_f16 v140, v80, 0x2fb7, -v140
	v_add_f16_e32 v83, v158, v139
	v_fma_f16 v139, v29, 0x3b15, -v160
	v_mul_f16_e32 v158, 0xbbf1, v89
	v_mul_f16_e32 v169, 0x3a95, v120
	;; [unrolled: 1-line block ×3, first 2 shown]
	v_fma_f16 v150, v80, 0xb5ac, -v150
	v_add_f16_e32 v83, v139, v83
	v_fma_f16 v139, v2, 0x2fb7, -v158
	v_add_f16_e32 v140, v77, v140
	v_fma_f16 v141, v81, 0xbbc4, -v141
	v_fma_f16 v171, v33, 0x388b, -v169
	;; [unrolled: 1-line block ×3, first 2 shown]
	v_add_f16_e32 v83, v139, v83
	v_fma_f16 v139, v30, 0xbbc4, -v166
	v_mul_f16_e32 v173, 0x3bf1, v86
	v_add_f16_e32 v150, v77, v150
	v_fma_f16 v152, v81, 0xb9fd, -v152
	v_add_f16_e32 v140, v141, v140
	v_add_f16_e32 v83, v139, v83
	v_fma_f16 v141, v82, 0xb5ac, -v142
	v_fmac_f16_e32 v146, 0x2fb7, v3
	v_mul_f16_e32 v174, 0xba95, v88
	v_mul_f16_e32 v162, 0xb94e, v28
	v_add_f16_e32 v83, v171, v83
	v_add_f16_e32 v171, v27, v172
	v_fma_f16 v172, v8, 0x2fb7, -v173
	v_add_f16_e32 v150, v152, v150
	v_fma_f16 v152, v82, 0x3b15, -v153
	;; [unrolled: 2-line block ×3, first 2 shown]
	v_add_f16_e32 v143, v27, v146
	v_fmac_f16_e32 v148, 0xbbc4, v8
	v_add_f16_e32 v171, v172, v171
	v_fma_f16 v172, v29, 0x388b, -v174
	v_mul_f16_e32 v176, 0x33a8, v89
	v_mul_f16_e32 v161, 0x3a95, v0
	v_fmamk_f16 v164, v80, 0xb9fd, v162
	v_mul_f16_e32 v165, 0x3bf1, v4
	v_fmac_f16_e32 v156, 0xb5ac, v3
	v_add_f16_e32 v150, v152, v150
	v_fma_f16 v152, v118, 0x2fb7, -v154
	v_add_f16_e32 v140, v141, v140
	v_fma_f16 v141, v85, 0x388b, -v144
	v_mul_f16_e32 v144, 0x388b, v80
	v_add_f16_e32 v143, v148, v143
	v_fmac_f16_e32 v149, 0xb5ac, v29
	v_add_f16_e32 v39, v27, v39
	v_add_f16_e32 v171, v172, v171
	v_fma_f16 v172, v2, 0xbbc4, -v176
	v_mul_f16_e32 v180, 0x3770, v117
	v_fmamk_f16 v163, v119, 0x388b, v161
	v_add_f16_e32 v164, v77, v164
	v_fmamk_f16 v167, v81, 0x2fb7, v165
	v_mul_f16_e32 v168, 0xba95, v5
	v_add_f16_e32 v156, v27, v156
	v_fmac_f16_e32 v159, 0xb9fd, v8
	v_add_f16_e32 v150, v152, v150
	v_fma_f16 v152, v85, 0xbbc4, -v157
	v_add_f16_e32 v140, v141, v140
	v_fma_f16 v141, v119, 0xb9fd, -v147
	v_fmamk_f16 v146, v28, 0x3a95, v144
	v_mul_f16_e32 v147, 0xb5ac, v81
	v_add_f16_e32 v143, v149, v143
	v_fmac_f16_e32 v145, 0x3b15, v2
	v_add_f16_e32 v39, v41, v39
	v_add_f16_e32 v40, v40, v77
	;; [unrolled: 1-line block ×3, first 2 shown]
	v_fma_f16 v172, v30, 0x3b15, -v180
	v_add_f16_e32 v78, v163, v78
	v_add_f16_e32 v163, v167, v164
	v_fmamk_f16 v164, v82, 0x388b, v168
	v_mul_f16_e32 v167, 0x33a8, v6
	v_add_f16_e32 v154, v159, v156
	v_fmac_f16_e32 v160, 0x3b15, v29
	v_add_f16_e32 v150, v152, v150
	v_fma_f16 v152, v119, 0x388b, -v161
	v_add_f16_e32 v140, v141, v140
	v_add_f16_e32 v141, v77, v146
	v_fmamk_f16 v146, v4, 0x3b7b, v147
	v_mul_f16_e32 v148, 0xbbc4, v82
	v_add_f16_e32 v143, v145, v143
	v_fmac_f16_e32 v151, 0x388b, v30
	v_mul_f16_e32 v145, 0xba95, v90
	v_add_f16_e32 v35, v35, v39
	v_add_f16_e32 v39, v42, v40
	;; [unrolled: 1-line block ×3, first 2 shown]
	v_mul_f16_e32 v172, 0xbb7b, v120
	v_mul_f16_e32 v183, 0xb3a8, v90
	v_add_f16_e32 v139, v164, v163
	v_fmamk_f16 v163, v118, 0xbbc4, v167
	v_mul_f16_e32 v164, 0x3770, v7
	v_add_f16_e32 v154, v160, v154
	v_fmac_f16_e32 v158, 0x2fb7, v2
	v_add_f16_e32 v150, v152, v150
	v_add_f16_e32 v141, v146, v141
	v_fmamk_f16 v146, v5, 0x33a8, v148
	v_mul_f16_e32 v149, 0xb9fd, v118
	v_add_f16_e32 v143, v151, v143
	v_fmamk_f16 v151, v3, 0x388b, v145
	v_mul_f16_e32 v152, 0xbb7b, v86
	v_add_f16_e32 v35, v43, v35
	v_add_f16_e32 v36, v36, v39
	v_fma_f16 v185, v33, 0xb5ac, -v172
	v_fma_f16 v186, v3, 0xbbc4, -v183
	v_mul_f16_e32 v187, 0x3770, v86
	v_add_f16_e32 v139, v163, v139
	v_fmamk_f16 v163, v85, 0x3b15, v164
	v_mul_f16_e32 v175, 0xb3a8, v28
	v_add_f16_e32 v142, v158, v154
	v_add_f16_e32 v141, v146, v141
	v_fmamk_f16 v146, v6, 0xb94e, v149
	v_mul_f16_e32 v154, 0x2fb7, v85
	v_add_f16_e32 v151, v27, v151
	v_fmamk_f16 v156, v8, 0xb5ac, v152
	v_mul_f16_e32 v157, 0xb3a8, v88
	v_add_f16_e32 v35, v45, v35
	v_add_f16_e32 v36, v46, v36
	;; [unrolled: 1-line block ×4, first 2 shown]
	v_fma_f16 v186, v8, 0x3b15, -v187
	v_mul_f16_e32 v188, 0xb94e, v88
	v_add_f16_e32 v139, v163, v139
	v_mul_f16_e32 v163, 0xbb7b, v0
	v_fmamk_f16 v178, v80, 0xbbc4, v175
	v_mul_f16_e32 v179, 0x3770, v4
	v_fma_f16 v175, v80, 0xbbc4, -v175
	v_fma_f16 v162, v80, 0xb9fd, -v162
	v_fmac_f16_e32 v155, 0xb9fd, v33
	v_add_f16_e32 v141, v146, v141
	v_fmamk_f16 v146, v7, 0xbbf1, v154
	v_add_f16_e32 v151, v156, v151
	v_fmamk_f16 v156, v29, 0xbbc4, v157
	v_mul_f16_e32 v158, 0x394e, v89
	v_mul_f16_e32 v80, 0x3b15, v80
	v_add_f16_e32 v35, v79, v35
	v_add_f16_e32 v36, v47, v36
	;; [unrolled: 1-line block ×3, first 2 shown]
	v_fma_f16 v186, v29, 0xb9fd, -v188
	v_mul_f16_e32 v189, 0x3a95, v89
	v_fmamk_f16 v177, v119, 0xb5ac, v163
	v_add_f16_e32 v178, v77, v178
	v_fmamk_f16 v181, v81, 0x3b15, v179
	v_mul_f16_e32 v182, 0xb94e, v5
	v_add_f16_e32 v175, v77, v175
	v_fma_f16 v179, v81, 0x3b15, -v179
	v_add_f16_e32 v162, v77, v162
	v_fma_f16 v165, v81, 0x2fb7, -v165
	v_add_f16_e32 v143, v155, v143
	v_add_f16_e32 v141, v146, v141
	;; [unrolled: 1-line block ×3, first 2 shown]
	v_fmamk_f16 v151, v2, 0xb9fd, v158
	v_mul_f16_e32 v155, 0x3bf1, v117
	v_fmamk_f16 v159, v28, 0x3770, v80
	v_mul_f16_e32 v81, 0x388b, v81
	v_add_f16_e32 v35, v48, v35
	v_add_f16_e32 v36, v87, v36
	;; [unrolled: 1-line block ×3, first 2 shown]
	v_fma_f16 v186, v2, 0x388b, -v189
	v_mul_f16_e32 v191, 0xbb7b, v117
	v_add_f16_e32 v139, v177, v139
	v_add_f16_e32 v177, v181, v178
	v_fmamk_f16 v178, v82, 0xb9fd, v182
	v_mul_f16_e32 v181, 0x3a95, v6
	v_add_f16_e32 v175, v179, v175
	v_fma_f16 v179, v82, 0xb9fd, -v182
	v_add_f16_e32 v162, v165, v162
	v_fma_f16 v165, v82, 0x388b, -v168
	v_add_f16_e32 v146, v151, v146
	v_fmamk_f16 v151, v30, 0x2fb7, v155
	v_mul_f16_e32 v160, 0x3770, v120
	v_add_f16_e32 v159, v77, v159
	v_fmamk_f16 v161, v4, 0x3a95, v81
	v_mul_f16_e32 v82, 0x2fb7, v82
	v_add_f16_e32 v34, v34, v35
	v_add_f16_e32 v35, v84, v36
	v_fmac_f16_e32 v144, 0xba95, v28
	v_add_f16_e32 v182, v186, v185
	v_fma_f16 v185, v30, 0xb5ac, -v191
	v_mul_f16_e32 v186, 0x3bf1, v120
	v_fmac_f16_e32 v183, 0xbbc4, v3
	v_add_f16_e32 v177, v178, v177
	v_fmamk_f16 v178, v118, 0x388b, v181
	v_add_f16_e32 v175, v179, v175
	v_fma_f16 v179, v118, 0x388b, -v181
	v_add_f16_e32 v162, v165, v162
	v_fma_f16 v165, v118, 0xbbc4, -v167
	v_add_f16_e32 v146, v151, v146
	v_fmamk_f16 v151, v33, 0x3b15, v160
	v_add_f16_e32 v159, v161, v159
	v_fmamk_f16 v161, v5, 0x3bf1, v82
	v_mul_f16_e32 v118, 0xb5ac, v118
	v_add_f16_e32 v13, v13, v34
	v_add_f16_e32 v34, v44, v35
	;; [unrolled: 1-line block ×3, first 2 shown]
	v_fmac_f16_e32 v147, 0xbb7b, v4
	v_mul_f16_e32 v184, 0xbb7b, v7
	v_add_f16_e32 v181, v185, v182
	v_fma_f16 v182, v33, 0x2fb7, -v186
	v_add_f16_e32 v183, v27, v183
	v_fmac_f16_e32 v187, 0x3b15, v8
	v_add_f16_e32 v146, v151, v146
	v_add_f16_e32 v151, v161, v159
	v_fmamk_f16 v159, v6, 0x3b7b, v118
	v_mul_f16_e32 v90, 0xb770, v90
	v_add_f16_e32 v13, v14, v13
	v_add_f16_e32 v14, v31, v34
	;; [unrolled: 1-line block ×3, first 2 shown]
	v_fmac_f16_e32 v148, 0xb3a8, v5
	v_fma_f16 v35, v3, 0x388b, -v145
	v_add_f16_e32 v175, v179, v175
	v_fma_f16 v179, v85, 0xb5ac, -v184
	v_add_f16_e32 v181, v182, v181
	v_add_f16_e32 v182, v187, v183
	v_fmac_f16_e32 v188, 0xb9fd, v29
	v_add_f16_e32 v177, v178, v177
	v_fmamk_f16 v178, v85, 0xb5ac, v184
	v_fma_f16 v164, v85, 0x3b15, -v164
	v_mul_f16_e32 v85, 0xb9fd, v85
	v_add_f16_e32 v41, v159, v151
	v_fmamk_f16 v159, v3, 0x3b15, v90
	v_mul_f16_e32 v40, 0xba95, v86
	v_add_f16_e32 v9, v9, v14
	v_add_f16_e32 v14, v148, v31
	v_fmac_f16_e32 v149, 0x394e, v6
	v_add_f16_e32 v31, v27, v35
	v_fma_f16 v35, v8, 0xb5ac, -v152
	v_add_f16_e32 v175, v179, v175
	v_add_f16_e32 v179, v188, v182
	v_fmac_f16_e32 v189, 0x388b, v2
	v_fmac_f16_e32 v170, 0xb9fd, v3
	v_fmamk_f16 v151, v7, 0x394e, v85
	v_add_f16_e32 v42, v27, v159
	v_fmamk_f16 v39, v8, 0x388b, v40
	v_mul_f16_e32 v43, 0xbbf1, v88
	v_mul_f16_e32 v86, 0xbbc4, v119
	v_add_f16_e32 v9, v10, v9
	v_add_f16_e32 v10, v149, v14
	v_add_f16_e32 v14, v35, v31
	v_fma_f16 v31, v29, 0xbbc4, -v157
	v_fmac_f16_e32 v80, 0xb770, v28
	v_fma_f16 v3, v3, 0x3b15, -v90
	v_add_f16_e32 v168, v189, v179
	v_fmac_f16_e32 v191, 0xb5ac, v30
	v_add_f16_e32 v170, v27, v170
	v_fmac_f16_e32 v173, 0x2fb7, v8
	v_add_f16_e32 v41, v151, v41
	v_add_f16_e32 v39, v39, v42
	v_fmamk_f16 v42, v29, 0x2fb7, v43
	v_mul_f16_e32 v45, 0xbb7b, v89
	v_fmamk_f16 v46, v0, 0x33a8, v86
	v_add_f16_e32 v9, v11, v9
	v_add_f16_e32 v11, v31, v14
	v_add_f16_e32 v14, v77, v80
	v_fmac_f16_e32 v81, 0xba95, v4
	v_add_f16_e32 v3, v27, v3
	v_fma_f16 v8, v8, 0x388b, -v40
	v_add_f16_e32 v167, v191, v168
	v_fmac_f16_e32 v186, 0x2fb7, v33
	v_add_f16_e32 v168, v173, v170
	v_fmac_f16_e32 v174, 0x388b, v29
	v_add_f16_e32 v39, v42, v39
	v_fmamk_f16 v42, v2, 0xb5ac, v45
	v_add_f16_e32 v41, v46, v41
	v_mul_f16_e32 v46, 0xb94e, v117
	v_fma_f16 v4, v2, 0xb9fd, -v158
	v_add_f16_e32 v162, v165, v162
	v_add_f16_e32 v14, v81, v14
	v_fmac_f16_e32 v82, 0xbbf1, v5
	v_add_f16_e32 v3, v8, v3
	v_fma_f16 v5, v29, 0x2fb7, -v43
	v_add_f16_e32 v165, v186, v167
	v_add_f16_e32 v167, v174, v168
	v_fmac_f16_e32 v176, 0xbbc4, v2
	v_add_f16_e32 v39, v42, v39
	v_fmamk_f16 v36, v30, 0xb9fd, v46
	v_mul_f16_e32 v42, 0xb3a8, v120
	v_add_f16_e32 v4, v4, v11
	v_fma_f16 v8, v30, 0x2fb7, -v155
	v_add_f16_e32 v162, v164, v162
	v_fma_f16 v163, v119, 0xb5ac, -v163
	v_mul_f16_e32 v156, 0x3b15, v119
	v_add_f16_e32 v11, v82, v14
	v_fmac_f16_e32 v118, 0xbb7b, v6
	v_add_f16_e32 v3, v5, v3
	v_fma_f16 v2, v2, 0xb5ac, -v45
	v_add_f16_e32 v164, v176, v167
	v_fmac_f16_e32 v180, 0x3b15, v30
	v_fmac_f16_e32 v166, 0xbbc4, v30
	v_add_f16_e32 v177, v178, v177
	v_mul_f16_e32 v178, 0x3bf1, v0
	v_add_f16_e32 v36, v36, v39
	v_fmamk_f16 v39, v33, 0xbbc4, v42
	v_add_f16_e32 v13, v38, v13
	v_add_f16_e32 v4, v8, v4
	v_mul_u32_u24_e32 v8, 52, v91
	v_add_f16_e32 v162, v163, v162
	v_fmamk_f16 v163, v0, 0xb770, v156
	v_fmac_f16_e32 v154, 0x3bf1, v7
	v_add_f16_e32 v5, v118, v11
	v_fmac_f16_e32 v85, 0xb94e, v7
	v_add_f16_e32 v2, v2, v3
	v_fma_f16 v3, v30, 0xb9fd, -v46
	v_add_f16_e32 v153, v180, v164
	v_fmac_f16_e32 v172, 0xb5ac, v33
	v_add_f16_e32 v142, v166, v142
	v_fmac_f16_e32 v169, 0x388b, v33
	v_fmamk_f16 v190, v119, 0x2fb7, v178
	v_fma_f16 v178, v119, 0x2fb7, -v178
	v_add_f16_e32 v34, v39, v36
	v_add_f16_e32 v13, v37, v13
	v_or_b32_e32 v8, v8, v76
	v_add_f16_e32 v141, v163, v141
	v_add_f16_e32 v10, v154, v10
	v_fmac_f16_e32 v156, 0x3770, v0
	v_fma_f16 v7, v33, 0x3b15, -v160
	v_add_f16_e32 v5, v85, v5
	v_fmac_f16_e32 v86, 0xb3a8, v0
	v_add_f16_e32 v0, v3, v2
	v_fma_f16 v2, v33, 0xbbc4, -v42
	v_add_f16_e32 v153, v172, v153
	v_add_f16_e32 v142, v169, v142
	;; [unrolled: 1-line block ×4, first 2 shown]
	v_lshlrev_b32_e32 v3, 2, v8
	v_pack_b32_f16 v8, v13, v9
	v_pack_b32_f16 v9, v34, v41
	v_add_f16_e32 v6, v156, v10
	v_pack_b32_f16 v10, v146, v141
	v_pack_b32_f16 v11, v143, v140
	v_add_f16_e32 v4, v7, v4
	v_add_f16_e32 v5, v86, v5
	;; [unrolled: 1-line block ×3, first 2 shown]
	v_pack_b32_f16 v2, v142, v150
	v_pack_b32_f16 v7, v153, v162
	ds_write2_b32 v3, v8, v9 offset1:4
	ds_write2_b32 v3, v10, v11 offset0:8 offset1:12
	v_pack_b32_f16 v8, v165, v175
	v_pack_b32_f16 v9, v181, v177
	;; [unrolled: 1-line block ×7, first 2 shown]
	ds_write2_b32 v3, v2, v7 offset0:16 offset1:20
	ds_write2_b32 v3, v8, v9 offset0:24 offset1:28
	;; [unrolled: 1-line block ×4, first 2 shown]
	ds_write_b32 v3, v0 offset:192
.LBB0_9:
	s_or_b32 exec_lo, exec_lo, s0
	v_add_nc_u32_e32 v1, 0x800, v68
	s_waitcnt lgkmcnt(0)
	s_barrier
	buffer_gl0_inv
	ds_read2_b32 v[6:7], v68 offset1:52
	ds_read2_b32 v[8:9], v1 offset0:112 offset1:164
	ds_read2_b32 v[10:11], v68 offset0:104 offset1:156
	v_add_nc_u32_e32 v5, 0xa00, v68
	v_add_nc_u32_e32 v4, 0x200, v68
	;; [unrolled: 1-line block ×5, first 2 shown]
	ds_read2_b32 v[13:14], v5 offset0:88 offset1:140
	ds_read2_b32 v[27:28], v4 offset0:80 offset1:132
	;; [unrolled: 1-line block ×9, first 2 shown]
	s_waitcnt lgkmcnt(0)
	s_barrier
	buffer_gl0_inv
	s_mov_b32 s4, 0x1a41a41a
	s_mov_b32 s5, 0x3f4a41a4
	s_mul_i32 s7, s8, 0xfffff710
	v_lshrrev_b32_e32 v43, 16, v6
	v_lshrrev_b32_e32 v46, 16, v8
	;; [unrolled: 1-line block ×3, first 2 shown]
	v_mul_f16_sdwa v118, v102, v8 dst_sel:DWORD dst_unused:UNUSED_PAD src0_sel:WORD_1 src1_sel:DWORD
	v_lshrrev_b32_e32 v44, 16, v7
	v_lshrrev_b32_e32 v83, 16, v33
	v_mul_f16_sdwa v117, v102, v46 dst_sel:DWORD dst_unused:UNUSED_PAD src0_sel:WORD_1 src1_sel:DWORD
	v_lshrrev_b32_e32 v48, 16, v13
	v_lshrrev_b32_e32 v77, 16, v14
	v_mul_f16_sdwa v120, v102, v47 dst_sel:DWORD dst_unused:UNUSED_PAD src0_sel:WORD_1 src1_sel:DWORD
	v_lshrrev_b32_e32 v79, 16, v29
	v_fmac_f16_e32 v117, v102, v8
	v_fma_f16 v8, v102, v46, -v118
	v_mul_f16_sdwa v46, v102, v9 dst_sel:DWORD dst_unused:UNUSED_PAD src0_sel:WORD_1 src1_sel:DWORD
	v_lshrrev_b32_e32 v81, 16, v30
	v_fmac_f16_e32 v120, v102, v9
	v_mul_f16_sdwa v9, v112, v48 dst_sel:DWORD dst_unused:UNUSED_PAD src0_sel:WORD_1 src1_sel:DWORD
	v_mul_f16_sdwa v118, v112, v13 dst_sel:DWORD dst_unused:UNUSED_PAD src0_sel:WORD_1 src1_sel:DWORD
	;; [unrolled: 1-line block ×3, first 2 shown]
	v_fma_f16 v46, v102, v47, -v46
	v_mul_f16_sdwa v47, v111, v14 dst_sel:DWORD dst_unused:UNUSED_PAD src0_sel:WORD_1 src1_sel:DWORD
	v_lshrrev_b32_e32 v87, 16, v37
	v_fmac_f16_e32 v9, v112, v13
	v_fma_f16 v13, v112, v48, -v118
	v_fmac_f16_e32 v140, v111, v14
	v_mul_f16_sdwa v14, v109, v79 dst_sel:DWORD dst_unused:UNUSED_PAD src0_sel:WORD_1 src1_sel:DWORD
	v_fma_f16 v47, v111, v77, -v47
	v_mul_f16_sdwa v48, v109, v29 dst_sel:DWORD dst_unused:UNUSED_PAD src0_sel:WORD_1 src1_sel:DWORD
	v_mul_f16_sdwa v77, v110, v81 dst_sel:DWORD dst_unused:UNUSED_PAD src0_sel:WORD_1 src1_sel:DWORD
	;; [unrolled: 1-line block ×3, first 2 shown]
	v_lshrrev_b32_e32 v85, 16, v34
	v_lshrrev_b32_e32 v89, 16, v38
	v_fmac_f16_e32 v14, v109, v29
	v_mul_f16_sdwa v29, v108, v83 dst_sel:DWORD dst_unused:UNUSED_PAD src0_sel:WORD_1 src1_sel:DWORD
	v_fma_f16 v48, v109, v79, -v48
	v_fmac_f16_e32 v77, v110, v30
	v_fma_f16 v30, v110, v81, -v102
	v_mul_f16_sdwa v79, v108, v33 dst_sel:DWORD dst_unused:UNUSED_PAD src0_sel:WORD_1 src1_sel:DWORD
	v_mul_f16_sdwa v102, v106, v87 dst_sel:DWORD dst_unused:UNUSED_PAD src0_sel:WORD_1 src1_sel:DWORD
	v_lshrrev_b32_e32 v91, 16, v41
	v_lshrrev_b32_e32 v139, 16, v42
	v_fmac_f16_e32 v29, v108, v33
	v_mul_f16_sdwa v33, v107, v85 dst_sel:DWORD dst_unused:UNUSED_PAD src0_sel:WORD_1 src1_sel:DWORD
	v_mul_f16_sdwa v81, v107, v34 dst_sel:DWORD dst_unused:UNUSED_PAD src0_sel:WORD_1 src1_sel:DWORD
	v_fma_f16 v79, v108, v83, -v79
	v_mul_f16_sdwa v83, v106, v37 dst_sel:DWORD dst_unused:UNUSED_PAD src0_sel:WORD_1 src1_sel:DWORD
	v_fmac_f16_e32 v102, v106, v37
	v_mul_f16_sdwa v37, v105, v89 dst_sel:DWORD dst_unused:UNUSED_PAD src0_sel:WORD_1 src1_sel:DWORD
	v_fmac_f16_e32 v33, v107, v34
	v_fma_f16 v34, v107, v85, -v81
	v_fma_f16 v81, v106, v87, -v83
	v_mul_f16_sdwa v83, v105, v38 dst_sel:DWORD dst_unused:UNUSED_PAD src0_sel:WORD_1 src1_sel:DWORD
	v_mul_f16_sdwa v85, v104, v91 dst_sel:DWORD dst_unused:UNUSED_PAD src0_sel:WORD_1 src1_sel:DWORD
	;; [unrolled: 1-line block ×3, first 2 shown]
	v_fmac_f16_e32 v37, v105, v38
	v_mul_f16_sdwa v38, v103, v139 dst_sel:DWORD dst_unused:UNUSED_PAD src0_sel:WORD_1 src1_sel:DWORD
	v_lshrrev_b32_e32 v45, 16, v10
	v_fmac_f16_e32 v85, v104, v41
	v_fma_f16 v41, v104, v91, -v87
	v_mul_f16_sdwa v87, v103, v42 dst_sel:DWORD dst_unused:UNUSED_PAD src0_sel:WORD_1 src1_sel:DWORD
	v_fmac_f16_e32 v38, v103, v42
	v_sub_f16_e32 v42, v6, v117
	v_sub_f16_e32 v8, v43, v8
	v_lshrrev_b32_e32 v76, 16, v11
	v_fma_f16 v83, v105, v89, -v83
	v_sub_f16_e32 v89, v7, v120
	v_sub_f16_e32 v46, v44, v46
	v_lshrrev_b32_e32 v78, 16, v27
	v_lshrrev_b32_e32 v80, 16, v28
	;; [unrolled: 1-line block ×4, first 2 shown]
	v_fma_f16 v6, v6, 2.0, -v42
	v_fma_f16 v43, v43, 2.0, -v8
	v_sub_f16_e32 v9, v10, v9
	v_sub_f16_e32 v13, v45, v13
	v_lshrrev_b32_e32 v86, 16, v35
	v_fma_f16 v7, v7, 2.0, -v89
	v_fma_f16 v44, v44, 2.0, -v46
	v_sub_f16_e32 v91, v11, v140
	v_sub_f16_e32 v47, v76, v47
	v_lshrrev_b32_e32 v88, 16, v36
	v_sub_f16_e32 v14, v27, v14
	v_sub_f16_e32 v48, v78, v48
	v_lshrrev_b32_e32 v90, 16, v39
	;; [unrolled: 3-line block ×3, first 2 shown]
	v_fma_f16 v87, v103, v139, -v87
	v_sub_f16_e32 v29, v31, v29
	v_sub_f16_e32 v79, v82, v79
	v_fma_f16 v10, v10, 2.0, -v9
	v_fma_f16 v45, v45, 2.0, -v13
	v_sub_f16_e32 v33, v32, v33
	v_sub_f16_e32 v34, v84, v34
	v_pack_b32_f16 v6, v6, v43
	v_pack_b32_f16 v8, v42, v8
	v_fma_f16 v11, v11, 2.0, -v91
	v_fma_f16 v76, v76, 2.0, -v47
	v_sub_f16_e32 v102, v35, v102
	v_sub_f16_e32 v81, v86, v81
	v_pack_b32_f16 v7, v7, v44
	v_pack_b32_f16 v42, v89, v46
	v_fma_f16 v27, v27, 2.0, -v14
	v_fma_f16 v78, v78, 2.0, -v48
	v_sub_f16_e32 v37, v36, v37
	v_sub_f16_e32 v83, v88, v83
	v_fma_f16 v28, v28, 2.0, -v77
	v_fma_f16 v80, v80, 2.0, -v30
	v_sub_f16_e32 v85, v39, v85
	v_sub_f16_e32 v41, v90, v41
	;; [unrolled: 4-line block ×3, first 2 shown]
	v_fma_f16 v32, v32, 2.0, -v33
	v_fma_f16 v84, v84, 2.0, -v34
	ds_write2_b32 v68, v6, v8 offset1:52
	ds_write2_b32 v68, v7, v42 offset0:104 offset1:156
	v_pack_b32_f16 v6, v10, v45
	v_pack_b32_f16 v7, v9, v13
	v_add_nc_u32_e32 v8, 0x200, v93
	v_fma_f16 v35, v35, 2.0, -v102
	v_fma_f16 v86, v86, 2.0, -v81
	v_pack_b32_f16 v9, v11, v76
	v_pack_b32_f16 v10, v91, v47
	v_add_nc_u32_e32 v11, 0x400, v92
	v_fma_f16 v36, v36, 2.0, -v37
	v_fma_f16 v88, v88, 2.0, -v83
	;; [unrolled: 5-line block ×4, first 2 shown]
	v_pack_b32_f16 v31, v31, v82
	v_pack_b32_f16 v29, v29, v79
	v_add_nc_u32_e32 v43, 0x800, v94
	ds_write2_b32 v8, v6, v7 offset0:80 offset1:132
	ds_write2_b32 v11, v9, v10 offset0:56 offset1:108
	;; [unrolled: 1-line block ×5, first 2 shown]
	v_pack_b32_f16 v6, v32, v84
	v_pack_b32_f16 v7, v33, v34
	v_add_nc_u32_e32 v8, 0xa00, v98
	v_pack_b32_f16 v9, v35, v86
	v_pack_b32_f16 v10, v102, v81
	v_add_nc_u32_e32 v11, 0xc00, v97
	v_pack_b32_f16 v13, v36, v88
	v_pack_b32_f16 v14, v37, v83
	v_add_nc_u32_e32 v27, 0xc00, v101
	v_pack_b32_f16 v28, v39, v90
	v_pack_b32_f16 v29, v85, v41
	v_add_nc_u32_e32 v30, 0x1000, v100
	v_pack_b32_f16 v31, v40, v103
	v_pack_b32_f16 v32, v38, v87
	v_add_nc_u32_e32 v33, 0x1000, v99
	ds_write2_b32 v8, v6, v7 offset0:88 offset1:140
	ds_write2_b32 v11, v9, v10 offset0:64 offset1:116
	ds_write2_b32 v27, v13, v14 offset0:168 offset1:220
	ds_write2_b32 v30, v28, v29 offset0:16 offset1:68
	ds_write2_b32 v33, v31, v32 offset0:120 offset1:172
	s_waitcnt lgkmcnt(0)
	s_barrier
	buffer_gl0_inv
	ds_read2_b32 v[6:7], v68 offset1:52
	ds_read2_b32 v[8:9], v2 offset0:160 offset1:212
	ds_read2_b32 v[10:11], v3 offset0:64 offset1:116
	;; [unrolled: 1-line block ×11, first 2 shown]
	s_waitcnt lgkmcnt(0)
	s_barrier
	buffer_gl0_inv
	v_lshrrev_b32_e32 v43, 16, v6
	v_lshrrev_b32_e32 v44, 16, v8
	;; [unrolled: 1-line block ×4, first 2 shown]
	v_mul_f16_sdwa v94, v25, v8 dst_sel:DWORD dst_unused:UNUSED_PAD src0_sel:WORD_1 src1_sel:DWORD
	v_lshrrev_b32_e32 v48, 16, v11
	v_mul_f16_sdwa v92, v25, v44 dst_sel:DWORD dst_unused:UNUSED_PAD src0_sel:WORD_1 src1_sel:DWORD
	v_mul_f16_sdwa v96, v26, v45 dst_sel:DWORD dst_unused:UNUSED_PAD src0_sel:WORD_1 src1_sel:DWORD
	v_lshrrev_b32_e32 v77, 16, v27
	v_fma_f16 v44, v25, v44, -v94
	v_mul_f16_sdwa v94, v23, v47 dst_sel:DWORD dst_unused:UNUSED_PAD src0_sel:WORD_1 src1_sel:DWORD
	v_fmac_f16_e32 v92, v25, v8
	v_mul_f16_sdwa v8, v26, v10 dst_sel:DWORD dst_unused:UNUSED_PAD src0_sel:WORD_1 src1_sel:DWORD
	v_fmac_f16_e32 v96, v26, v10
	v_mul_f16_sdwa v10, v23, v9 dst_sel:DWORD dst_unused:UNUSED_PAD src0_sel:WORD_1 src1_sel:DWORD
	v_lshrrev_b32_e32 v78, 16, v29
	v_fmac_f16_e32 v94, v23, v9
	v_fma_f16 v8, v26, v45, -v8
	v_mul_f16_sdwa v45, v24, v48 dst_sel:DWORD dst_unused:UNUSED_PAD src0_sel:WORD_1 src1_sel:DWORD
	v_mul_f16_sdwa v9, v24, v11 dst_sel:DWORD dst_unused:UNUSED_PAD src0_sel:WORD_1 src1_sel:DWORD
	v_fma_f16 v10, v23, v47, -v10
	v_mul_f16_sdwa v47, v25, v77 dst_sel:DWORD dst_unused:UNUSED_PAD src0_sel:WORD_1 src1_sel:DWORD
	v_lshrrev_b32_e32 v80, 16, v28
	v_lshrrev_b32_e32 v81, 16, v30
	v_fmac_f16_e32 v45, v24, v11
	v_mul_f16_sdwa v11, v25, v27 dst_sel:DWORD dst_unused:UNUSED_PAD src0_sel:WORD_1 src1_sel:DWORD
	v_fma_f16 v9, v24, v48, -v9
	v_mul_f16_sdwa v48, v26, v78 dst_sel:DWORD dst_unused:UNUSED_PAD src0_sel:WORD_1 src1_sel:DWORD
	v_fmac_f16_e32 v47, v25, v27
	v_mul_f16_sdwa v27, v26, v29 dst_sel:DWORD dst_unused:UNUSED_PAD src0_sel:WORD_1 src1_sel:DWORD
	v_lshrrev_b32_e32 v83, 16, v33
	v_fma_f16 v11, v25, v77, -v11
	v_mul_f16_sdwa v25, v23, v80 dst_sel:DWORD dst_unused:UNUSED_PAD src0_sel:WORD_1 src1_sel:DWORD
	v_fmac_f16_e32 v48, v26, v29
	v_mul_f16_sdwa v29, v23, v28 dst_sel:DWORD dst_unused:UNUSED_PAD src0_sel:WORD_1 src1_sel:DWORD
	v_fma_f16 v26, v26, v78, -v27
	v_mul_f16_sdwa v27, v24, v81 dst_sel:DWORD dst_unused:UNUSED_PAD src0_sel:WORD_1 src1_sel:DWORD
	v_lshrrev_b32_e32 v84, 16, v35
	v_lshrrev_b32_e32 v86, 16, v34
	v_fmac_f16_e32 v25, v23, v28
	v_mul_f16_sdwa v28, v24, v30 dst_sel:DWORD dst_unused:UNUSED_PAD src0_sel:WORD_1 src1_sel:DWORD
	v_fma_f16 v23, v23, v80, -v29
	v_mul_f16_sdwa v29, v21, v83 dst_sel:DWORD dst_unused:UNUSED_PAD src0_sel:WORD_1 src1_sel:DWORD
	v_fmac_f16_e32 v27, v24, v30
	v_mul_f16_sdwa v30, v21, v33 dst_sel:DWORD dst_unused:UNUSED_PAD src0_sel:WORD_1 src1_sel:DWORD
	v_lshrrev_b32_e32 v87, 16, v36
	v_fma_f16 v24, v24, v81, -v28
	v_mul_f16_sdwa v28, v22, v84 dst_sel:DWORD dst_unused:UNUSED_PAD src0_sel:WORD_1 src1_sel:DWORD
	v_fmac_f16_e32 v29, v21, v33
	;; [unrolled: 15-line block ×3, first 2 shown]
	v_mul_f16_sdwa v36, v17, v39 dst_sel:DWORD dst_unused:UNUSED_PAD src0_sel:WORD_1 src1_sel:DWORD
	v_fma_f16 v20, v20, v87, -v34
	v_mul_f16_sdwa v34, v18, v90 dst_sel:DWORD dst_unused:UNUSED_PAD src0_sel:WORD_1 src1_sel:DWORD
	v_lshrrev_b32_e32 v95, 16, v42
	v_fmac_f16_e32 v35, v17, v39
	v_mul_f16_sdwa v39, v18, v41 dst_sel:DWORD dst_unused:UNUSED_PAD src0_sel:WORD_1 src1_sel:DWORD
	v_fma_f16 v17, v17, v89, -v36
	v_mul_f16_sdwa v36, v15, v93 dst_sel:DWORD dst_unused:UNUSED_PAD src0_sel:WORD_1 src1_sel:DWORD
	v_fmac_f16_e32 v34, v18, v41
	v_mul_f16_sdwa v41, v15, v40 dst_sel:DWORD dst_unused:UNUSED_PAD src0_sel:WORD_1 src1_sel:DWORD
	v_fma_f16 v18, v18, v90, -v39
	v_mul_f16_sdwa v39, v16, v95 dst_sel:DWORD dst_unused:UNUSED_PAD src0_sel:WORD_1 src1_sel:DWORD
	v_fmac_f16_e32 v36, v15, v40
	v_mul_f16_sdwa v40, v16, v42 dst_sel:DWORD dst_unused:UNUSED_PAD src0_sel:WORD_1 src1_sel:DWORD
	v_fma_f16 v15, v15, v93, -v41
	v_add_f16_e32 v41, v92, v96
	v_fmac_f16_e32 v39, v16, v42
	v_add_f16_e32 v42, v6, v92
	v_fma_f16 v16, v16, v95, -v40
	v_add_f16_e32 v40, v44, v8
	v_fma_f16 v6, -0.5, v41, v6
	v_sub_f16_e32 v41, v44, v8
	v_lshrrev_b32_e32 v46, 16, v7
	v_add_f16_e32 v44, v43, v44
	v_fmac_f16_e32 v43, -0.5, v40
	v_sub_f16_e32 v40, v92, v96
	v_fmamk_f16 v77, v41, 0xbaee, v6
	v_fmac_f16_e32 v6, 0x3aee, v41
	v_add_f16_e32 v41, v94, v45
	v_add_f16_e32 v8, v44, v8
	v_fmamk_f16 v44, v40, 0x3aee, v43
	v_add_f16_e32 v78, v7, v94
	v_fmac_f16_e32 v43, 0xbaee, v40
	v_add_f16_e32 v40, v10, v9
	v_fmac_f16_e32 v7, -0.5, v41
	v_sub_f16_e32 v41, v10, v9
	v_add_f16_e32 v10, v46, v10
	v_lshrrev_b32_e32 v76, 16, v13
	v_fmac_f16_e32 v46, -0.5, v40
	v_sub_f16_e32 v40, v94, v45
	v_add_f16_e32 v78, v78, v45
	v_add_f16_e32 v9, v10, v9
	;; [unrolled: 1-line block ×3, first 2 shown]
	v_fmamk_f16 v45, v41, 0xbaee, v7
	v_fmac_f16_e32 v7, 0x3aee, v41
	v_fmamk_f16 v41, v40, 0x3aee, v46
	v_add_f16_e32 v80, v13, v47
	v_fmac_f16_e32 v46, 0xbaee, v40
	v_add_f16_e32 v40, v11, v26
	v_fma_f16 v10, -0.5, v10, v13
	v_sub_f16_e32 v13, v11, v26
	v_lshrrev_b32_e32 v79, 16, v14
	v_add_f16_e32 v11, v76, v11
	v_fmac_f16_e32 v76, -0.5, v40
	v_sub_f16_e32 v40, v47, v48
	v_fmamk_f16 v47, v13, 0xbaee, v10
	v_fmac_f16_e32 v10, 0x3aee, v13
	v_add_f16_e32 v13, v25, v27
	v_add_f16_e32 v80, v80, v48
	v_add_f16_e32 v11, v11, v26
	v_fmamk_f16 v26, v40, 0x3aee, v76
	v_add_f16_e32 v48, v14, v25
	v_fmac_f16_e32 v76, 0xbaee, v40
	v_add_f16_e32 v40, v23, v24
	v_fmac_f16_e32 v14, -0.5, v13
	v_sub_f16_e32 v13, v23, v24
	v_add_f16_e32 v23, v79, v23
	v_lshrrev_b32_e32 v82, 16, v31
	v_add_f16_e32 v48, v48, v27
	v_fmac_f16_e32 v79, -0.5, v40
	v_sub_f16_e32 v25, v25, v27
	v_fmamk_f16 v27, v13, 0xbaee, v14
	v_fmac_f16_e32 v14, 0x3aee, v13
	v_add_f16_e32 v13, v23, v24
	v_add_f16_e32 v23, v29, v28
	v_fmamk_f16 v24, v25, 0x3aee, v79
	v_add_f16_e32 v40, v31, v29
	v_fmac_f16_e32 v79, 0xbaee, v25
	v_add_f16_e32 v25, v21, v22
	v_fma_f16 v23, -0.5, v23, v31
	v_sub_f16_e32 v31, v21, v22
	v_add_f16_e32 v21, v82, v21
	v_lshrrev_b32_e32 v85, 16, v32
	v_fmac_f16_e32 v82, -0.5, v25
	v_sub_f16_e32 v25, v29, v28
	v_add_f16_e32 v40, v40, v28
	v_add_f16_e32 v21, v21, v22
	;; [unrolled: 1-line block ×3, first 2 shown]
	v_fmamk_f16 v28, v31, 0xbaee, v23
	v_fmac_f16_e32 v23, 0x3aee, v31
	v_fmamk_f16 v29, v25, 0x3aee, v82
	v_add_f16_e32 v31, v32, v30
	v_fmac_f16_e32 v82, 0xbaee, v25
	v_add_f16_e32 v25, v19, v20
	v_fmac_f16_e32 v32, -0.5, v22
	v_sub_f16_e32 v22, v19, v20
	v_add_f16_e32 v19, v85, v19
	v_lshrrev_b32_e32 v88, 16, v37
	v_fmac_f16_e32 v85, -0.5, v25
	v_sub_f16_e32 v25, v30, v33
	v_add_f16_e32 v31, v31, v33
	v_add_f16_e32 v19, v19, v20
	v_add_f16_e32 v20, v35, v34
	v_fmamk_f16 v30, v22, 0xbaee, v32
	v_fmac_f16_e32 v32, 0x3aee, v22
	v_fmamk_f16 v22, v25, 0x3aee, v85
	v_add_f16_e32 v33, v37, v35
	v_fmac_f16_e32 v85, 0xbaee, v25
	v_add_f16_e32 v25, v17, v18
	v_fma_f16 v20, -0.5, v20, v37
	v_sub_f16_e32 v37, v17, v18
	v_add_f16_e32 v17, v88, v17
	v_lshrrev_b32_e32 v91, 16, v38
	v_fmac_f16_e32 v88, -0.5, v25
	v_sub_f16_e32 v25, v35, v34
	v_add_f16_e32 v33, v33, v34
	v_add_f16_e32 v17, v17, v18
	;; [unrolled: 1-line block ×3, first 2 shown]
	v_fmamk_f16 v34, v37, 0xbaee, v20
	v_fmac_f16_e32 v20, 0x3aee, v37
	v_fmamk_f16 v35, v25, 0x3aee, v88
	v_fmac_f16_e32 v88, 0xbaee, v25
	v_add_f16_e32 v25, v15, v16
	v_add_f16_e32 v37, v38, v36
	v_fmac_f16_e32 v38, -0.5, v18
	v_sub_f16_e32 v18, v15, v16
	v_add_f16_e32 v42, v42, v96
	v_add_f16_e32 v15, v91, v15
	v_fmac_f16_e32 v91, -0.5, v25
	v_sub_f16_e32 v25, v36, v39
	v_add_f16_e32 v36, v37, v39
	v_fmamk_f16 v37, v18, 0xbaee, v38
	v_fmac_f16_e32 v38, 0x3aee, v18
	v_pack_b32_f16 v18, v77, v44
	v_pack_b32_f16 v6, v6, v43
	;; [unrolled: 1-line block ×3, first 2 shown]
	ds_write_b32 v68, v18 offset:416
	ds_write_b32 v68, v6 offset:832
	v_pack_b32_f16 v6, v78, v9
	v_pack_b32_f16 v9, v45, v41
	v_pack_b32_f16 v7, v7, v46
	v_pack_b32_f16 v11, v80, v11
	v_pack_b32_f16 v18, v47, v26
	v_pack_b32_f16 v13, v48, v13
	ds_write2_b32 v68, v8, v6 offset1:52
	ds_write_b32 v68, v9 offset:624
	ds_write2_b32 v2, v7, v11 offset0:4 offset1:56
	v_pack_b32_f16 v6, v10, v76
	v_pack_b32_f16 v7, v27, v24
	v_add_nc_u32_e32 v39, 0x600, v68
	v_pack_b32_f16 v8, v14, v79
	v_pack_b32_f16 v9, v40, v21
	;; [unrolled: 1-line block ×3, first 2 shown]
	v_add_nc_u32_e32 v11, 0x800, v115
	v_add_f16_e32 v15, v15, v16
	v_fmamk_f16 v16, v25, 0x3aee, v91
	ds_write2_b32 v2, v13, v18 offset0:108 offset1:160
	v_pack_b32_f16 v13, v23, v82
	v_fmac_f16_e32 v91, 0xbaee, v25
	v_pack_b32_f16 v14, v31, v19
	v_pack_b32_f16 v18, v30, v22
	v_add_nc_u32_e32 v19, 0x800, v113
	ds_write2_b32 v39, v7, v6 offset0:84 offset1:136
	ds_write_b32 v68, v8 offset:2288
	ds_write2_b32 v11, v9, v10 offset0:112 offset1:216
	ds_write_b32 v115, v13 offset:3328
	ds_write2_b32 v19, v14, v18 offset0:112 offset1:216
	v_pack_b32_f16 v6, v32, v85
	v_pack_b32_f16 v7, v33, v17
	;; [unrolled: 1-line block ×3, first 2 shown]
	v_add_nc_u32_e32 v9, 0xe00, v114
	v_pack_b32_f16 v10, v20, v88
	v_pack_b32_f16 v11, v36, v15
	;; [unrolled: 1-line block ×3, first 2 shown]
	v_add_nc_u32_e32 v14, 0xe00, v116
	v_pack_b32_f16 v15, v38, v91
	ds_write_b32 v113, v6 offset:3328
	ds_write2_b32 v9, v7, v8 offset0:40 offset1:144
	ds_write_b32 v114, v10 offset:4576
	ds_write2_b32 v14, v11, v13 offset0:40 offset1:144
	ds_write_b32 v116, v15 offset:4576
	s_waitcnt lgkmcnt(0)
	s_barrier
	buffer_gl0_inv
	ds_read2_b32 v[6:7], v68 offset1:52
	ds_read2_b32 v[8:9], v1 offset0:112 offset1:164
	ds_read2_b32 v[10:11], v68 offset0:104 offset1:156
	;; [unrolled: 1-line block ×11, first 2 shown]
	s_waitcnt lgkmcnt(0)
	s_barrier
	buffer_gl0_inv
	v_lshrrev_b32_e32 v31, 16, v6
	v_lshrrev_b32_e32 v32, 16, v8
	;; [unrolled: 1-line block ×3, first 2 shown]
	v_mul_f16_sdwa v82, v121, v8 dst_sel:DWORD dst_unused:UNUSED_PAD src0_sel:WORD_1 src1_sel:DWORD
	v_lshrrev_b32_e32 v36, 16, v13
	v_lshrrev_b32_e32 v38, 16, v14
	v_mul_f16_sdwa v81, v121, v32 dst_sel:DWORD dst_unused:UNUSED_PAD src0_sel:WORD_1 src1_sel:DWORD
	v_mul_f16_sdwa v84, v122, v34 dst_sel:DWORD dst_unused:UNUSED_PAD src0_sel:WORD_1 src1_sel:DWORD
	v_lshrrev_b32_e32 v41, 16, v17
	v_lshrrev_b32_e32 v43, 16, v18
	v_mul_f16_sdwa v86, v124, v38 dst_sel:DWORD dst_unused:UNUSED_PAD src0_sel:WORD_1 src1_sel:DWORD
	v_fmac_f16_e32 v81, v121, v8
	v_fma_f16 v8, v121, v32, -v82
	v_mul_f16_sdwa v32, v122, v9 dst_sel:DWORD dst_unused:UNUSED_PAD src0_sel:WORD_1 src1_sel:DWORD
	v_fmac_f16_e32 v84, v122, v9
	v_mul_f16_sdwa v9, v126, v36 dst_sel:DWORD dst_unused:UNUSED_PAD src0_sel:WORD_1 src1_sel:DWORD
	v_mul_f16_sdwa v82, v126, v13 dst_sel:DWORD dst_unused:UNUSED_PAD src0_sel:WORD_1 src1_sel:DWORD
	v_lshrrev_b32_e32 v45, 16, v21
	v_fma_f16 v32, v122, v34, -v32
	v_mul_f16_sdwa v34, v124, v14 dst_sel:DWORD dst_unused:UNUSED_PAD src0_sel:WORD_1 src1_sel:DWORD
	v_lshrrev_b32_e32 v76, 16, v25
	v_fmac_f16_e32 v9, v126, v13
	v_fma_f16 v13, v126, v36, -v82
	v_fmac_f16_e32 v86, v124, v14
	v_mul_f16_sdwa v14, v125, v41 dst_sel:DWORD dst_unused:UNUSED_PAD src0_sel:WORD_1 src1_sel:DWORD
	v_fma_f16 v34, v124, v38, -v34
	v_mul_f16_sdwa v36, v125, v17 dst_sel:DWORD dst_unused:UNUSED_PAD src0_sel:WORD_1 src1_sel:DWORD
	v_mul_f16_sdwa v38, v123, v43 dst_sel:DWORD dst_unused:UNUSED_PAD src0_sel:WORD_1 src1_sel:DWORD
	;; [unrolled: 1-line block ×3, first 2 shown]
	v_lshrrev_b32_e32 v47, 16, v22
	v_lshrrev_b32_e32 v78, 16, v26
	v_fmac_f16_e32 v14, v125, v17
	v_mul_f16_sdwa v17, v121, v45 dst_sel:DWORD dst_unused:UNUSED_PAD src0_sel:WORD_1 src1_sel:DWORD
	v_fma_f16 v36, v125, v41, -v36
	v_fmac_f16_e32 v38, v123, v18
	v_fma_f16 v18, v123, v43, -v82
	v_mul_f16_sdwa v41, v121, v21 dst_sel:DWORD dst_unused:UNUSED_PAD src0_sel:WORD_1 src1_sel:DWORD
	v_mul_f16_sdwa v82, v126, v76 dst_sel:DWORD dst_unused:UNUSED_PAD src0_sel:WORD_1 src1_sel:DWORD
	v_lshrrev_b32_e32 v80, 16, v29
	v_lshrrev_b32_e32 v85, 16, v30
	v_fmac_f16_e32 v17, v121, v21
	v_mul_f16_sdwa v21, v122, v47 dst_sel:DWORD dst_unused:UNUSED_PAD src0_sel:WORD_1 src1_sel:DWORD
	v_mul_f16_sdwa v43, v122, v22 dst_sel:DWORD dst_unused:UNUSED_PAD src0_sel:WORD_1 src1_sel:DWORD
	v_fma_f16 v41, v121, v45, -v41
	v_mul_f16_sdwa v45, v126, v25 dst_sel:DWORD dst_unused:UNUSED_PAD src0_sel:WORD_1 src1_sel:DWORD
	v_fmac_f16_e32 v82, v126, v25
	v_mul_f16_sdwa v25, v124, v78 dst_sel:DWORD dst_unused:UNUSED_PAD src0_sel:WORD_1 src1_sel:DWORD
	v_lshrrev_b32_e32 v33, 16, v7
	v_fmac_f16_e32 v21, v122, v22
	v_fma_f16 v22, v122, v47, -v43
	v_fma_f16 v43, v126, v76, -v45
	v_mul_f16_sdwa v45, v124, v26 dst_sel:DWORD dst_unused:UNUSED_PAD src0_sel:WORD_1 src1_sel:DWORD
	v_mul_f16_sdwa v47, v125, v80 dst_sel:DWORD dst_unused:UNUSED_PAD src0_sel:WORD_1 src1_sel:DWORD
	;; [unrolled: 1-line block ×3, first 2 shown]
	v_fmac_f16_e32 v25, v124, v26
	v_mul_f16_sdwa v26, v123, v85 dst_sel:DWORD dst_unused:UNUSED_PAD src0_sel:WORD_1 src1_sel:DWORD
	v_lshrrev_b32_e32 v35, 16, v10
	v_lshrrev_b32_e32 v37, 16, v11
	v_fma_f16 v45, v124, v78, -v45
	v_fmac_f16_e32 v47, v125, v29
	v_fma_f16 v29, v125, v80, -v76
	v_mul_f16_sdwa v76, v123, v30 dst_sel:DWORD dst_unused:UNUSED_PAD src0_sel:WORD_1 src1_sel:DWORD
	v_fmac_f16_e32 v26, v123, v30
	v_sub_f16_e32 v30, v6, v81
	v_sub_f16_e32 v8, v31, v8
	;; [unrolled: 1-line block ×8, first 2 shown]
	v_lshrrev_b32_e32 v40, 16, v15
	v_lshrrev_b32_e32 v42, 16, v16
	;; [unrolled: 1-line block ×5, first 2 shown]
	v_fma_f16 v6, v6, 2.0, -v30
	v_fma_f16 v31, v31, 2.0, -v8
	;; [unrolled: 1-line block ×8, first 2 shown]
	v_sub_f16_e32 v14, v15, v14
	v_sub_f16_e32 v36, v40, v36
	;; [unrolled: 1-line block ×8, first 2 shown]
	v_pack_b32_f16 v8, v30, v8
	v_lshrrev_b32_e32 v77, 16, v24
	v_lshrrev_b32_e32 v79, 16, v27
	v_sub_f16_e32 v17, v19, v17
	v_sub_f16_e32 v41, v44, v41
	v_pack_b32_f16 v6, v6, v31
	v_pack_b32_f16 v7, v7, v33
	;; [unrolled: 1-line block ×4, first 2 shown]
	v_lshrrev_b32_e32 v83, 16, v28
	v_fma_f16 v76, v123, v85, -v76
	v_pack_b32_f16 v10, v10, v35
	v_pack_b32_f16 v11, v11, v37
	v_fma_f16 v15, v15, 2.0, -v14
	v_fma_f16 v40, v40, 2.0, -v36
	;; [unrolled: 1-line block ×8, first 2 shown]
	ds_write_b32 v68, v8 offset:1248
	ds_write2_b32 v68, v6, v7 offset1:52
	ds_write2_b32 v2, v30, v9 offset0:108 offset1:160
	ds_write2_b32 v68, v10, v11 offset0:104 offset1:156
	v_pack_b32_f16 v6, v80, v34
	v_pack_b32_f16 v7, v14, v36
	v_fma_f16 v19, v19, 2.0, -v17
	v_fma_f16 v44, v44, 2.0, -v41
	v_sub_f16_e32 v25, v24, v25
	v_sub_f16_e32 v45, v77, v45
	;; [unrolled: 1-line block ×6, first 2 shown]
	v_pack_b32_f16 v8, v15, v40
	v_pack_b32_f16 v9, v16, v42
	ds_write2_b32 v39, v6, v7 offset0:84 offset1:136
	v_pack_b32_f16 v6, v20, v46
	v_pack_b32_f16 v7, v23, v48
	v_fma_f16 v24, v24, 2.0, -v25
	v_fma_f16 v77, v77, 2.0, -v45
	;; [unrolled: 1-line block ×4, first 2 shown]
	v_pack_b32_f16 v10, v38, v18
	v_pack_b32_f16 v11, v19, v44
	v_fma_f16 v28, v28, 2.0, -v26
	v_fma_f16 v82, v83, 2.0, -v76
	ds_write2_b32 v4, v8, v9 offset0:80 offset1:132
	ds_write2_b32 v1, v10, v11 offset0:60 offset1:112
	v_pack_b32_f16 v9, v21, v22
	ds_write2_b32 v1, v6, v7 offset0:164 offset1:216
	v_pack_b32_f16 v6, v81, v43
	v_add_nc_u32_e32 v31, 0xe00, v68
	v_pack_b32_f16 v7, v24, v77
	v_pack_b32_f16 v11, v27, v79
	;; [unrolled: 1-line block ×7, first 2 shown]
	ds_write2_b32 v31, v9, v6 offset0:92 offset1:144
	ds_write2_b32 v3, v7, v11 offset0:12 offset1:64
	;; [unrolled: 1-line block ×4, first 2 shown]
	ds_write_b32 v68, v15 offset:4784
	s_waitcnt lgkmcnt(0)
	s_barrier
	buffer_gl0_inv
	ds_read2_b32 v[6:7], v68 offset1:52
	ds_read2_b32 v[8:9], v1 offset0:112 offset1:164
	ds_read2_b32 v[10:11], v68 offset0:104 offset1:156
	;; [unrolled: 1-line block ×11, first 2 shown]
	s_waitcnt lgkmcnt(11)
	v_lshrrev_b32_e32 v32, 16, v6
	s_waitcnt lgkmcnt(10)
	v_lshrrev_b32_e32 v33, 16, v8
	v_lshrrev_b32_e32 v35, 16, v9
	s_waitcnt lgkmcnt(8)
	v_lshrrev_b32_e32 v37, 16, v13
	v_lshrrev_b32_e32 v39, 16, v14
	v_mul_f16_sdwa v82, v136, v8 dst_sel:DWORD dst_unused:UNUSED_PAD src0_sel:WORD_1 src1_sel:DWORD
	v_mul_f16_sdwa v80, v136, v33 dst_sel:DWORD dst_unused:UNUSED_PAD src0_sel:WORD_1 src1_sel:DWORD
	s_waitcnt lgkmcnt(6)
	v_lshrrev_b32_e32 v41, 16, v17
	v_lshrrev_b32_e32 v43, 16, v18
	v_mul_f16_sdwa v85, v135, v37 dst_sel:DWORD dst_unused:UNUSED_PAD src0_sel:WORD_1 src1_sel:DWORD
	v_fma_f16 v33, v136, v33, -v82
	v_fmac_f16_e32 v80, v136, v8
	v_mul_f16_sdwa v8, v131, v35 dst_sel:DWORD dst_unused:UNUSED_PAD src0_sel:WORD_1 src1_sel:DWORD
	v_mul_f16_sdwa v82, v131, v9 dst_sel:DWORD dst_unused:UNUSED_PAD src0_sel:WORD_1 src1_sel:DWORD
	;; [unrolled: 1-line block ×3, first 2 shown]
	s_waitcnt lgkmcnt(4)
	v_lshrrev_b32_e32 v45, 16, v21
	v_fmac_f16_e32 v85, v135, v13
	v_fmac_f16_e32 v8, v131, v9
	v_mul_f16_sdwa v9, v128, v39 dst_sel:DWORD dst_unused:UNUSED_PAD src0_sel:WORD_1 src1_sel:DWORD
	v_fma_f16 v35, v131, v35, -v82
	v_fma_f16 v13, v135, v37, -v86
	v_mul_f16_sdwa v37, v128, v14 dst_sel:DWORD dst_unused:UNUSED_PAD src0_sel:WORD_1 src1_sel:DWORD
	v_mul_f16_sdwa v82, v129, v17 dst_sel:DWORD dst_unused:UNUSED_PAD src0_sel:WORD_1 src1_sel:DWORD
	v_fmac_f16_e32 v9, v128, v14
	v_mul_f16_sdwa v14, v129, v41 dst_sel:DWORD dst_unused:UNUSED_PAD src0_sel:WORD_1 src1_sel:DWORD
	v_mul_f16_sdwa v86, v133, v43 dst_sel:DWORD dst_unused:UNUSED_PAD src0_sel:WORD_1 src1_sel:DWORD
	v_lshrrev_b32_e32 v47, 16, v22
	s_waitcnt lgkmcnt(2)
	v_lshrrev_b32_e32 v76, 16, v25
	v_fma_f16 v37, v128, v39, -v37
	v_mul_f16_sdwa v39, v133, v18 dst_sel:DWORD dst_unused:UNUSED_PAD src0_sel:WORD_1 src1_sel:DWORD
	v_fmac_f16_e32 v14, v129, v17
	v_fma_f16 v17, v129, v41, -v82
	v_fmac_f16_e32 v86, v133, v18
	v_mul_f16_sdwa v18, v138, v45 dst_sel:DWORD dst_unused:UNUSED_PAD src0_sel:WORD_1 src1_sel:DWORD
	v_mul_f16_sdwa v41, v138, v21 dst_sel:DWORD dst_unused:UNUSED_PAD src0_sel:WORD_1 src1_sel:DWORD
	v_lshrrev_b32_e32 v78, 16, v26
	s_waitcnt lgkmcnt(1)
	v_lshrrev_b32_e32 v81, 16, v29
	v_fma_f16 v39, v133, v43, -v39
	v_mul_f16_sdwa v43, v137, v47 dst_sel:DWORD dst_unused:UNUSED_PAD src0_sel:WORD_1 src1_sel:DWORD
	v_mul_f16_sdwa v82, v137, v22 dst_sel:DWORD dst_unused:UNUSED_PAD src0_sel:WORD_1 src1_sel:DWORD
	v_fmac_f16_e32 v18, v138, v21
	v_mul_f16_sdwa v21, v130, v76 dst_sel:DWORD dst_unused:UNUSED_PAD src0_sel:WORD_1 src1_sel:DWORD
	v_fma_f16 v41, v138, v45, -v41
	v_mul_f16_sdwa v45, v130, v25 dst_sel:DWORD dst_unused:UNUSED_PAD src0_sel:WORD_1 src1_sel:DWORD
	v_lshrrev_b32_e32 v84, 16, v30
	v_fmac_f16_e32 v43, v137, v22
	v_fma_f16 v22, v137, v47, -v82
	v_fmac_f16_e32 v21, v130, v25
	v_mul_f16_sdwa v25, v132, v78 dst_sel:DWORD dst_unused:UNUSED_PAD src0_sel:WORD_1 src1_sel:DWORD
	v_mul_f16_sdwa v47, v132, v26 dst_sel:DWORD dst_unused:UNUSED_PAD src0_sel:WORD_1 src1_sel:DWORD
	;; [unrolled: 1-line block ×3, first 2 shown]
	v_fma_f16 v45, v130, v76, -v45
	v_mul_f16_sdwa v76, v134, v29 dst_sel:DWORD dst_unused:UNUSED_PAD src0_sel:WORD_1 src1_sel:DWORD
	v_lshrrev_b32_e32 v34, 16, v7
	v_lshrrev_b32_e32 v36, 16, v10
	;; [unrolled: 1-line block ×3, first 2 shown]
	v_fmac_f16_e32 v25, v132, v26
	v_fma_f16 v26, v132, v78, -v47
	v_fmac_f16_e32 v82, v134, v29
	v_mul_f16_sdwa v29, v127, v84 dst_sel:DWORD dst_unused:UNUSED_PAD src0_sel:WORD_1 src1_sel:DWORD
	v_fma_f16 v47, v134, v81, -v76
	v_mul_f16_sdwa v76, v127, v30 dst_sel:DWORD dst_unused:UNUSED_PAD src0_sel:WORD_1 src1_sel:DWORD
	v_sub_f16_e32 v78, v6, v80
	v_sub_f16_e32 v33, v32, v33
	;; [unrolled: 1-line block ×4, first 2 shown]
	v_lshrrev_b32_e32 v40, 16, v15
	v_lshrrev_b32_e32 v42, 16, v16
	;; [unrolled: 1-line block ×4, first 2 shown]
	v_fmac_f16_e32 v29, v127, v30
	v_fma_f16 v30, v127, v84, -v76
	v_fma_f16 v6, v6, 2.0, -v78
	v_fma_f16 v32, v32, 2.0, -v33
	v_sub_f16_e32 v76, v10, v85
	v_sub_f16_e32 v13, v36, v13
	;; [unrolled: 1-line block ×4, first 2 shown]
	v_lshrrev_b32_e32 v48, 16, v23
	v_lshrrev_b32_e32 v77, 16, v24
	v_fma_f16 v7, v7, 2.0, -v8
	v_fma_f16 v34, v34, 2.0, -v35
	v_sub_f16_e32 v14, v15, v14
	v_sub_f16_e32 v17, v40, v17
	;; [unrolled: 1-line block ×4, first 2 shown]
	s_waitcnt lgkmcnt(0)
	v_lshrrev_b32_e32 v79, 16, v27
	v_lshrrev_b32_e32 v83, 16, v28
	v_sub_f16_e32 v18, v19, v18
	v_sub_f16_e32 v41, v44, v41
	;; [unrolled: 1-line block ×4, first 2 shown]
	v_fma_f16 v10, v10, 2.0, -v76
	v_fma_f16 v36, v36, 2.0, -v13
	;; [unrolled: 1-line block ×4, first 2 shown]
	v_pack_b32_f16 v6, v6, v32
	v_pack_b32_f16 v32, v78, v33
	v_sub_f16_e32 v21, v23, v21
	v_sub_f16_e32 v45, v48, v45
	;; [unrolled: 1-line block ×4, first 2 shown]
	v_pack_b32_f16 v7, v7, v34
	v_pack_b32_f16 v8, v8, v35
	;; [unrolled: 1-line block ×3, first 2 shown]
	v_fma_f16 v15, v15, 2.0, -v14
	v_fma_f16 v40, v40, 2.0, -v17
	;; [unrolled: 1-line block ×4, first 2 shown]
	v_sub_f16_e32 v81, v27, v82
	v_sub_f16_e32 v47, v79, v47
	;; [unrolled: 1-line block ×4, first 2 shown]
	v_fma_f16 v19, v19, 2.0, -v18
	v_fma_f16 v44, v44, 2.0, -v41
	;; [unrolled: 1-line block ×4, first 2 shown]
	ds_write_b32 v68, v32 offset:2496
	ds_write2_b32 v68, v6, v7 offset1:52
	v_pack_b32_f16 v6, v10, v36
	v_pack_b32_f16 v7, v11, v38
	v_fma_f16 v23, v23, 2.0, -v21
	v_fma_f16 v48, v48, 2.0, -v45
	;; [unrolled: 1-line block ×4, first 2 shown]
	ds_write2_b32 v1, v8, v13 offset0:164 offset1:216
	v_pack_b32_f16 v8, v9, v37
	v_pack_b32_f16 v10, v14, v17
	;; [unrolled: 1-line block ×4, first 2 shown]
	v_fma_f16 v27, v27, 2.0, -v81
	v_fma_f16 v79, v79, 2.0, -v47
	;; [unrolled: 1-line block ×4, first 2 shown]
	v_pack_b32_f16 v13, v80, v39
	v_pack_b32_f16 v15, v18, v41
	;; [unrolled: 1-line block ×4, first 2 shown]
	ds_write2_b32 v68, v6, v7 offset0:104 offset1:156
	ds_write2_b32 v3, v8, v10 offset0:12 offset1:64
	;; [unrolled: 1-line block ×5, first 2 shown]
	v_pack_b32_f16 v6, v43, v22
	v_pack_b32_f16 v8, v21, v45
	;; [unrolled: 1-line block ×9, first 2 shown]
	ds_write2_b32 v31, v6, v8 offset0:92 offset1:144
	ds_write2_b32 v2, v7, v9 offset0:160 offset1:212
	;; [unrolled: 1-line block ×4, first 2 shown]
	ds_write_b32 v68, v15 offset:4784
	s_waitcnt lgkmcnt(0)
	s_barrier
	buffer_gl0_inv
	ds_read2_b32 v[6:7], v68 offset1:52
	ds_read2_b32 v[13:14], v1 offset0:112 offset1:164
	s_waitcnt lgkmcnt(1)
	v_lshrrev_b32_e32 v10, 16, v6
	s_waitcnt lgkmcnt(0)
	v_lshrrev_b32_e32 v19, 16, v13
	v_lshrrev_b32_e32 v26, 16, v7
	v_mul_f16_sdwa v8, v75, v10 dst_sel:DWORD dst_unused:UNUSED_PAD src0_sel:WORD_1 src1_sel:DWORD
	v_mul_f16_sdwa v18, v74, v19 dst_sel:DWORD dst_unused:UNUSED_PAD src0_sel:WORD_1 src1_sel:DWORD
	v_fmac_f16_e32 v8, v75, v6
	v_mul_f16_sdwa v6, v75, v6 dst_sel:DWORD dst_unused:UNUSED_PAD src0_sel:WORD_1 src1_sel:DWORD
	v_fmac_f16_e32 v18, v74, v13
	v_mul_f16_sdwa v13, v74, v13 dst_sel:DWORD dst_unused:UNUSED_PAD src0_sel:WORD_1 src1_sel:DWORD
	v_cvt_f32_f16_e32 v8, v8
	v_fma_f16 v6, v75, v10, -v6
	v_fma_f16 v13, v74, v19, -v13
	v_cvt_f64_f32_e32 v[8:9], v8
	v_cvt_f32_f16_e32 v6, v6
	v_cvt_f64_f32_e32 v[10:11], v6
	v_mul_f64 v[8:9], v[8:9], s[4:5]
	v_mul_f64 v[10:11], v[10:11], s[4:5]
	v_and_or_b32 v6, 0x1ff, v9, v8
	v_lshrrev_b32_e32 v8, 8, v9
	v_bfe_u32 v15, v9, 20, 11
	v_cmp_ne_u32_e32 vcc_lo, 0, v6
	v_and_or_b32 v10, 0x1ff, v11, v10
	v_add_nc_u32_e32 v20, 0xfffffc10, v15
	v_bfe_u32 v21, v11, 20, 11
	v_cndmask_b32_e64 v6, 0, 1, vcc_lo
	v_and_or_b32 v8, 0xffe, v8, v6
	v_sub_nc_u32_e32 v6, 0x3f1, v15
	v_or_b32_e32 v16, 0x1000, v8
	v_med3_i32 v6, v6, 0, 13
	v_lshl_or_b32 v15, v20, 12, v8
	v_lshrrev_b32_e32 v17, v6, v16
	v_lshlrev_b32_e32 v6, v6, v17
	v_cmp_ne_u32_e32 vcc_lo, v6, v16
	v_cvt_f32_f16_e32 v16, v18
	v_cndmask_b32_e64 v6, 0, 1, vcc_lo
	v_cmp_ne_u32_e32 vcc_lo, 0, v10
	v_or_b32_e32 v6, v17, v6
	v_cndmask_b32_e64 v10, 0, 1, vcc_lo
	v_lshrrev_b32_e32 v17, 8, v11
	v_cmp_gt_i32_e32 vcc_lo, 1, v20
	v_lshrrev_b32_e32 v11, 16, v11
	v_and_or_b32 v10, 0xffe, v17, v10
	v_sub_nc_u32_e32 v17, 0x3f1, v21
	v_cndmask_b32_e32 v6, v15, v6, vcc_lo
	v_cvt_f64_f32_e32 v[15:16], v16
	v_add_nc_u32_e32 v21, 0xfffffc10, v21
	v_or_b32_e32 v23, 0x1000, v10
	v_med3_i32 v24, v17, 0, 13
	v_and_b32_e32 v22, 7, v6
	v_mad_u64_u32 v[17:18], null, s10, v12, 0
	v_lshrrev_b32_e32 v25, v24, v23
	v_cmp_lt_i32_e32 vcc_lo, 5, v22
	v_cmp_eq_u32_e64 s0, 3, v22
	v_lshrrev_b32_e32 v22, 2, v6
	v_mov_b32_e32 v6, v18
	v_lshlrev_b32_e32 v18, v24, v25
	s_or_b32 vcc_lo, s0, vcc_lo
	v_add_co_ci_u32_e32 v22, vcc_lo, 0, v22, vcc_lo
	v_cmp_ne_u32_e32 vcc_lo, v18, v23
	v_lshl_or_b32 v23, v21, 12, v10
	v_mul_f64 v[15:16], v[15:16], s[4:5]
	v_cndmask_b32_e64 v18, 0, 1, vcc_lo
	v_cmp_ne_u32_e32 vcc_lo, 0, v8
	v_or_b32_e32 v18, v25, v18
	v_cndmask_b32_e64 v8, 0, 1, vcc_lo
	v_cmp_gt_i32_e32 vcc_lo, 31, v20
	v_lshl_or_b32 v8, v8, 9, 0x7c00
	v_cndmask_b32_e32 v22, 0x7c00, v22, vcc_lo
	v_cmp_gt_i32_e32 vcc_lo, 1, v21
	v_cndmask_b32_e32 v23, v23, v18, vcc_lo
	v_cvt_f32_f16_e32 v18, v13
	v_cmp_eq_u32_e32 vcc_lo, 0x40f, v20
	v_mad_u64_u32 v[12:13], null, s11, v12, v[6:7]
	v_and_b32_e32 v6, 7, v23
	v_cvt_f64_f32_e32 v[18:19], v18
	v_cndmask_b32_e32 v13, v22, v8, vcc_lo
	v_and_or_b32 v8, 0x1ff, v16, v15
	v_lshrrev_b32_e32 v15, 16, v9
	v_cmp_lt_i32_e32 vcc_lo, 5, v6
	v_cmp_eq_u32_e64 s0, 3, v6
	v_lshrrev_b32_e32 v6, 2, v23
	v_cmp_ne_u32_e64 s1, 0, v8
	v_lshrrev_b32_e32 v9, 8, v16
	v_bfe_u32 v22, v16, 20, 11
	s_or_b32 vcc_lo, s0, vcc_lo
	v_and_or_b32 v15, 0x8000, v15, v13
	v_cndmask_b32_e64 v8, 0, 1, s1
	v_add_co_ci_u32_e32 v6, vcc_lo, 0, v6, vcc_lo
	v_cmp_ne_u32_e32 vcc_lo, 0, v10
	v_sub_nc_u32_e32 v20, 0x3f1, v22
	v_and_or_b32 v23, 0xffe, v9, v8
	v_add_nc_u32_e32 v22, 0xfffffc10, v22
	v_cndmask_b32_e64 v10, 0, 1, vcc_lo
	v_cmp_gt_i32_e32 vcc_lo, 31, v21
	v_mul_f64 v[8:9], v[18:19], s[4:5]
	v_or_b32_e32 v24, 0x1000, v23
	v_med3_i32 v25, v20, 0, 13
	v_lshl_or_b32 v10, v10, 9, 0x7c00
	v_cndmask_b32_e32 v6, 0x7c00, v6, vcc_lo
	v_cmp_eq_u32_e32 vcc_lo, 0x40f, v21
	v_mov_b32_e32 v18, v12
	v_lshrrev_b32_e32 v21, v25, v24
	v_mad_u64_u32 v[19:20], null, s8, v71, 0
	v_cndmask_b32_e32 v6, v6, v10, vcc_lo
	v_mul_f16_sdwa v10, v73, v26 dst_sel:DWORD dst_unused:UNUSED_PAD src0_sel:WORD_1 src1_sel:DWORD
	v_lshlrev_b32_e32 v12, v25, v21
	v_and_or_b32 v25, 0x8000, v11, v6
	v_fmac_f16_e32 v10, v73, v7
	v_cmp_ne_u32_e32 vcc_lo, v12, v24
	v_mov_b32_e32 v6, v20
	v_cvt_f32_f16_e32 v10, v10
	v_and_or_b32 v8, 0x1ff, v9, v8
	v_cndmask_b32_e64 v20, 0, 1, vcc_lo
	v_mad_u64_u32 v[12:13], null, s9, v71, v[6:7]
	v_cvt_f64_f32_e32 v[10:11], v10
	v_cmp_ne_u32_e32 vcc_lo, 0, v8
	v_or_b32_e32 v6, v21, v20
	v_lshl_or_b32 v13, v22, 12, v23
	v_lshrrev_b32_e32 v20, 8, v9
	v_bfe_u32 v21, v9, 20, 11
	v_cndmask_b32_e64 v8, 0, 1, vcc_lo
	v_cmp_gt_i32_e32 vcc_lo, 1, v22
	v_lshrrev_b32_e32 v9, 16, v9
	v_and_or_b32 v8, 0xffe, v20, v8
	v_cndmask_b32_e32 v24, v13, v6, vcc_lo
	v_sub_nc_u32_e32 v13, 0x3f1, v21
	v_and_b32_e32 v6, 0xffff, v15
	v_mov_b32_e32 v20, v12
	v_or_b32_e32 v27, 0x1000, v8
	v_and_b32_e32 v15, 7, v24
	v_med3_i32 v28, v13, 0, 13
	v_lshlrev_b64 v[12:13], 2, v[17:18]
	v_mul_f16_sdwa v17, v73, v7 dst_sel:DWORD dst_unused:UNUSED_PAD src0_sel:WORD_1 src1_sel:DWORD
	v_lshl_or_b32 v25, v25, 16, v6
	v_cmp_lt_i32_e32 vcc_lo, 5, v15
	v_cmp_eq_u32_e64 s0, 3, v15
	v_lshrrev_b32_e32 v15, v28, v27
	v_mul_f64 v[10:11], v[10:11], s[4:5]
	v_add_co_u32 v6, s1, s2, v12
	v_lshrrev_b32_e32 v12, 2, v24
	v_add_co_ci_u32_e64 v7, s1, s3, v13, s1
	v_fma_f16 v13, v73, v26, -v17
	v_lshlrev_b32_e32 v17, v28, v15
	s_or_b32 vcc_lo, s0, vcc_lo
	v_add_nc_u32_e32 v21, 0xfffffc10, v21
	v_add_co_ci_u32_e32 v18, vcc_lo, 0, v12, vcc_lo
	v_cmp_ne_u32_e32 vcc_lo, v17, v27
	v_cvt_f32_f16_e32 v12, v13
	s_mul_i32 s1, s9, 0x9c0
	s_mul_hi_u32 s2, s8, 0x9c0
	s_mul_i32 s3, s8, 0x9c0
	v_cndmask_b32_e64 v17, 0, 1, vcc_lo
	v_cmp_ne_u32_e32 vcc_lo, 0, v23
	v_cvt_f64_f32_e32 v[12:13], v12
	s_add_i32 s2, s2, s1
	s_mul_i32 s1, s9, 0xfffff710
	v_or_b32_e32 v15, v15, v17
	v_cndmask_b32_e64 v23, 0, 1, vcc_lo
	v_cmp_gt_i32_e32 vcc_lo, 31, v22
	v_lshl_or_b32 v17, v21, 12, v8
	v_and_or_b32 v10, 0x1ff, v11, v10
	v_bfe_u32 v26, v11, 20, 11
	v_cndmask_b32_e32 v18, 0x7c00, v18, vcc_lo
	v_cmp_gt_i32_e32 vcc_lo, 1, v21
	v_cndmask_b32_e32 v15, v17, v15, vcc_lo
	v_cmp_ne_u32_e32 vcc_lo, 0, v10
	v_lshl_or_b32 v17, v23, 9, 0x7c00
	v_lshrrev_b32_e32 v23, 8, v11
	v_lshrrev_b32_e32 v11, 16, v11
	v_and_b32_e32 v24, 7, v15
	v_cndmask_b32_e64 v10, 0, 1, vcc_lo
	v_cmp_eq_u32_e32 vcc_lo, 0x40f, v22
	v_mul_f64 v[12:13], v[12:13], s[4:5]
	v_lshrrev_b32_e32 v15, 2, v15
	v_cmp_eq_u32_e64 s0, 3, v24
	v_and_or_b32 v10, 0xffe, v23, v10
	v_cndmask_b32_e32 v17, v18, v17, vcc_lo
	v_cmp_lt_i32_e32 vcc_lo, 5, v24
	v_sub_nc_u32_e32 v18, 0x3f1, v26
	v_lshrrev_b32_e32 v23, 16, v16
	v_or_b32_e32 v22, 0x1000, v10
	s_or_b32 vcc_lo, s0, vcc_lo
	v_med3_i32 v18, v18, 0, 13
	v_add_co_ci_u32_e32 v15, vcc_lo, 0, v15, vcc_lo
	v_cmp_ne_u32_e32 vcc_lo, 0, v8
	v_and_or_b32 v17, 0x8000, v23, v17
	v_lshrrev_b32_e32 v24, v18, v22
	v_cndmask_b32_e64 v8, 0, 1, vcc_lo
	v_cmp_gt_i32_e32 vcc_lo, 31, v21
	v_lshlrev_b32_e32 v18, v18, v24
	v_and_or_b32 v12, 0x1ff, v13, v12
	v_bfe_u32 v23, v13, 20, 11
	v_lshl_or_b32 v8, v8, 9, 0x7c00
	v_cndmask_b32_e32 v27, 0x7c00, v15, vcc_lo
	v_cmp_eq_u32_e32 vcc_lo, 0x40f, v21
	v_lshlrev_b64 v[15:16], 2, v[19:20]
	v_add_nc_u32_e32 v20, 0xfffffc10, v26
	v_lshrrev_b32_e32 v19, 16, v14
	v_and_b32_e32 v17, 0xffff, v17
	v_cndmask_b32_e32 v8, v27, v8, vcc_lo
	v_cmp_ne_u32_e32 vcc_lo, v18, v22
	v_lshrrev_b32_e32 v22, 8, v13
	v_and_or_b32 v21, 0x8000, v9, v8
	v_cndmask_b32_e64 v18, 0, 1, vcc_lo
	v_cmp_ne_u32_e32 vcc_lo, 0, v12
	v_mul_f16_sdwa v9, v72, v19 dst_sel:DWORD dst_unused:UNUSED_PAD src0_sel:WORD_1 src1_sel:DWORD
	v_lshl_or_b32 v21, v21, 16, v17
	v_or_b32_e32 v8, v24, v18
	v_cndmask_b32_e64 v12, 0, 1, vcc_lo
	v_lshl_or_b32 v18, v20, 12, v10
	v_cmp_gt_i32_e32 vcc_lo, 1, v20
	v_fmac_f16_e32 v9, v72, v14
	v_mul_f16_sdwa v14, v72, v14 dst_sel:DWORD dst_unused:UNUSED_PAD src0_sel:WORD_1 src1_sel:DWORD
	v_and_or_b32 v12, 0xffe, v22, v12
	v_sub_nc_u32_e32 v22, 0x3f1, v23
	v_cndmask_b32_e32 v18, v18, v8, vcc_lo
	v_cvt_f32_f16_e32 v8, v9
	v_add_co_u32 v15, vcc_lo, v6, v15
	v_or_b32_e32 v26, 0x1000, v12
	v_med3_i32 v22, v22, 0, 13
	v_and_b32_e32 v24, 7, v18
	v_add_co_ci_u32_e32 v16, vcc_lo, v7, v16, vcc_lo
	v_cvt_f64_f32_e32 v[8:9], v8
	v_lshrrev_b32_e32 v27, v22, v26
	v_cmp_lt_i32_e32 vcc_lo, 5, v24
	v_cmp_eq_u32_e64 s0, 3, v24
	v_lshrrev_b32_e32 v17, 2, v18
	v_fma_f16 v14, v72, v19, -v14
	v_lshlrev_b32_e32 v18, v22, v27
	v_add_nc_u32_e32 v22, 0xfffffc10, v23
	s_or_b32 vcc_lo, s0, vcc_lo
	global_store_dword v[15:16], v25, off
	v_add_co_ci_u32_e32 v17, vcc_lo, 0, v17, vcc_lo
	v_cmp_ne_u32_e32 vcc_lo, v18, v26
	v_lshl_or_b32 v23, v22, 12, v12
	v_cvt_f32_f16_e32 v14, v14
	v_cndmask_b32_e64 v18, 0, 1, vcc_lo
	v_cmp_ne_u32_e32 vcc_lo, 0, v10
	v_or_b32_e32 v18, v27, v18
	v_cndmask_b32_e64 v10, 0, 1, vcc_lo
	v_cmp_gt_i32_e32 vcc_lo, 31, v20
	v_mul_f64 v[8:9], v[8:9], s[4:5]
	v_lshl_or_b32 v10, v10, 9, 0x7c00
	v_cndmask_b32_e32 v17, 0x7c00, v17, vcc_lo
	v_cmp_gt_i32_e32 vcc_lo, 1, v22
	v_cndmask_b32_e32 v19, v23, v18, vcc_lo
	v_cmp_eq_u32_e32 vcc_lo, 0x40f, v20
	v_and_b32_e32 v20, 7, v19
	v_cndmask_b32_e32 v10, v17, v10, vcc_lo
	v_cvt_f64_f32_e32 v[17:18], v14
	v_lshrrev_b32_e32 v19, 2, v19
	v_cmp_lt_i32_e32 vcc_lo, 5, v20
	v_cmp_eq_u32_e64 s0, 3, v20
	v_and_or_b32 v8, 0x1ff, v9, v8
	v_and_or_b32 v14, 0x8000, v11, v10
	ds_read2_b32 v[10:11], v68 offset0:104 offset1:156
	v_lshrrev_b32_e32 v20, 8, v9
	s_or_b32 vcc_lo, s0, vcc_lo
	v_bfe_u32 v23, v9, 20, 11
	v_add_co_ci_u32_e32 v19, vcc_lo, 0, v19, vcc_lo
	v_cmp_ne_u32_e32 vcc_lo, 0, v12
	v_and_b32_e32 v14, 0xffff, v14
	s_mul_hi_u32 s0, s8, 0xfffff710
	s_sub_i32 s6, s0, s8
	v_cndmask_b32_e64 v12, 0, 1, vcc_lo
	v_cmp_ne_u32_e32 vcc_lo, 0, v8
	s_add_i32 s6, s6, s1
	v_mul_f64 v[17:18], v[17:18], s[4:5]
	v_lshl_or_b32 v12, v12, 9, 0x7c00
	v_cndmask_b32_e64 v8, 0, 1, vcc_lo
	v_cmp_gt_i32_e32 vcc_lo, 31, v22
	s_waitcnt lgkmcnt(0)
	v_lshrrev_b32_e32 v26, 16, v10
	v_and_or_b32 v8, 0xffe, v20, v8
	v_sub_nc_u32_e32 v20, 0x3f1, v23
	v_cndmask_b32_e32 v19, 0x7c00, v19, vcc_lo
	v_cmp_eq_u32_e32 vcc_lo, 0x40f, v22
	v_lshrrev_b32_e32 v22, 16, v13
	v_or_b32_e32 v24, 0x1000, v8
	v_med3_i32 v20, v20, 0, 13
	v_add_nc_u32_e32 v23, 0xfffffc10, v23
	v_cndmask_b32_e32 v19, v19, v12, vcc_lo
	v_add_co_u32 v12, vcc_lo, v15, s3
	v_lshrrev_b32_e32 v27, v20, v24
	v_add_co_ci_u32_e32 v13, vcc_lo, s2, v16, vcc_lo
	v_and_or_b32 v19, 0x8000, v22, v19
	v_mul_f16_sdwa v22, v70, v26 dst_sel:DWORD dst_unused:UNUSED_PAD src0_sel:WORD_1 src1_sel:DWORD
	v_lshlrev_b32_e32 v15, v20, v27
	global_store_dword v[12:13], v21, off
	v_bfe_u32 v20, v18, 20, 11
	v_lshl_or_b32 v21, v19, 16, v14
	v_and_or_b32 v14, 0x1ff, v18, v17
	v_cmp_ne_u32_e32 vcc_lo, v15, v24
	v_fmac_f16_e32 v22, v70, v10
	v_lshrrev_b32_e32 v19, 8, v18
	v_mul_f16_sdwa v10, v70, v10 dst_sel:DWORD dst_unused:UNUSED_PAD src0_sel:WORD_1 src1_sel:DWORD
	v_lshrrev_b32_e32 v18, 16, v18
	v_cndmask_b32_e64 v15, 0, 1, vcc_lo
	v_cmp_ne_u32_e32 vcc_lo, 0, v14
	v_cvt_f32_f16_e32 v16, v22
	v_fma_f16 v10, v70, v26, -v10
	v_add_nc_u32_e32 v26, 0xfffffc10, v20
	v_or_b32_e32 v22, v27, v15
	v_cndmask_b32_e64 v17, 0, 1, vcc_lo
	v_cvt_f64_f32_e32 v[14:15], v16
	v_lshl_or_b32 v16, v23, 12, v8
	v_cmp_gt_i32_e32 vcc_lo, 1, v23
	v_cvt_f32_f16_e32 v10, v10
	v_and_or_b32 v24, 0xffe, v19, v17
	v_sub_nc_u32_e32 v17, 0x3f1, v20
	v_cndmask_b32_e32 v16, v16, v22, vcc_lo
	v_or_b32_e32 v19, 0x1000, v24
	v_med3_i32 v17, v17, 0, 13
	v_and_b32_e32 v22, 7, v16
	v_lshrrev_b32_e32 v25, v17, v19
	v_cmp_lt_i32_e32 vcc_lo, 5, v22
	v_cmp_eq_u32_e64 s0, 3, v22
	v_lshrrev_b32_e32 v22, 2, v16
	v_lshlrev_b32_e32 v17, v17, v25
	v_mul_f64 v[14:15], v[14:15], s[4:5]
	s_or_b32 vcc_lo, s0, vcc_lo
	v_cmp_ne_u32_e64 s1, v17, v19
	v_cvt_f64_f32_e32 v[16:17], v10
	v_add_co_ci_u32_e32 v10, vcc_lo, 0, v22, vcc_lo
	v_cmp_ne_u32_e32 vcc_lo, 0, v8
	v_cndmask_b32_e64 v19, 0, 1, s1
	v_cndmask_b32_e64 v8, 0, 1, vcc_lo
	v_cmp_gt_i32_e32 vcc_lo, 31, v23
	v_or_b32_e32 v22, v25, v19
	v_lshl_or_b32 v25, v26, 12, v24
	ds_read2_b32 v[19:20], v5 offset0:88 offset1:140
	v_lshl_or_b32 v8, v8, 9, 0x7c00
	v_cndmask_b32_e32 v5, 0x7c00, v10, vcc_lo
	v_cmp_gt_i32_e32 vcc_lo, 1, v26
	v_and_or_b32 v14, 0x1ff, v15, v14
	v_cndmask_b32_e32 v10, v25, v22, vcc_lo
	v_add_co_u32 v12, vcc_lo, v12, s7
	v_add_co_ci_u32_e32 v13, vcc_lo, s6, v13, vcc_lo
	v_cmp_eq_u32_e32 vcc_lo, 0x40f, v23
	v_lshrrev_b32_e32 v23, 16, v9
	v_cmp_ne_u32_e64 s0, 0, v14
	v_and_b32_e32 v22, 7, v10
	v_bfe_u32 v25, v15, 20, 11
	v_cndmask_b32_e32 v5, v5, v8, vcc_lo
	v_mul_f64 v[8:9], v[16:17], s[4:5]
	v_cndmask_b32_e64 v14, 0, 1, s0
	v_lshrrev_b32_e32 v16, 8, v15
	v_cmp_lt_i32_e32 vcc_lo, 5, v22
	v_cmp_eq_u32_e64 s0, 3, v22
	s_waitcnt lgkmcnt(0)
	v_lshrrev_b32_e32 v27, 16, v19
	v_lshrrev_b32_e32 v10, 2, v10
	v_and_or_b32 v14, 0xffe, v16, v14
	v_sub_nc_u32_e32 v16, 0x3f1, v25
	s_or_b32 vcc_lo, s0, vcc_lo
	v_mul_f16_sdwa v17, v69, v27 dst_sel:DWORD dst_unused:UNUSED_PAD src0_sel:WORD_1 src1_sel:DWORD
	v_add_co_ci_u32_e32 v10, vcc_lo, 0, v10, vcc_lo
	v_or_b32_e32 v22, 0x1000, v14
	v_med3_i32 v28, v16, 0, 13
	v_cmp_gt_i32_e32 vcc_lo, 31, v26
	v_fmac_f16_e32 v17, v69, v19
	v_and_or_b32 v5, 0x8000, v23, v5
	v_add_nc_u32_e32 v25, 0xfffffc10, v25
	v_lshrrev_b32_e32 v23, v28, v22
	v_cndmask_b32_e32 v10, 0x7c00, v10, vcc_lo
	v_cmp_ne_u32_e32 vcc_lo, 0, v24
	v_and_or_b32 v8, 0x1ff, v9, v8
	v_cvt_f32_f16_e32 v16, v17
	v_lshlrev_b32_e32 v28, v28, v23
	v_lshrrev_b32_e32 v29, 8, v9
	v_cndmask_b32_e64 v24, 0, 1, vcc_lo
	v_cmp_ne_u32_e32 vcc_lo, 0, v8
	v_cvt_f64_f32_e32 v[16:17], v16
	v_bfe_u32 v30, v9, 20, 11
	v_and_b32_e32 v5, 0xffff, v5
	v_lshl_or_b32 v24, v24, 9, 0x7c00
	v_cndmask_b32_e64 v8, 0, 1, vcc_lo
	v_cmp_ne_u32_e32 vcc_lo, v28, v22
	v_sub_nc_u32_e32 v28, 0x3f1, v30
	global_store_dword v[12:13], v21, off
	v_add_nc_u32_e32 v21, 0xfffffc10, v30
	v_and_or_b32 v8, 0xffe, v29, v8
	v_cndmask_b32_e64 v22, 0, 1, vcc_lo
	v_cmp_eq_u32_e32 vcc_lo, 0x40f, v26
	v_med3_i32 v28, v28, 0, 13
	v_cmp_eq_u32_e64 s1, 0x40f, v25
	v_or_b32_e32 v29, 0x1000, v8
	v_or_b32_e32 v22, v23, v22
	v_lshl_or_b32 v23, v25, 12, v14
	v_cndmask_b32_e32 v10, v10, v24, vcc_lo
	v_cmp_gt_i32_e32 vcc_lo, 1, v25
	v_lshrrev_b32_e32 v15, 16, v15
	v_and_or_b32 v10, 0x8000, v18, v10
	v_cndmask_b32_e32 v22, v23, v22, vcc_lo
	v_lshrrev_b32_e32 v23, v28, v29
	v_mul_f16_sdwa v18, v69, v19 dst_sel:DWORD dst_unused:UNUSED_PAD src0_sel:WORD_1 src1_sel:DWORD
	v_mul_f64 v[16:17], v[16:17], s[4:5]
	v_lshl_or_b32 v5, v10, 16, v5
	v_and_b32_e32 v19, 7, v22
	v_lshlrev_b32_e32 v24, v28, v23
	v_fma_f16 v10, v69, v27, -v18
	v_lshrrev_b32_e32 v22, 2, v22
	v_cmp_lt_i32_e32 vcc_lo, 5, v19
	v_cmp_ne_u32_e64 s0, v24, v29
	v_cvt_f32_f16_e32 v10, v10
	v_lshl_or_b32 v24, v21, 12, v8
	v_cndmask_b32_e64 v18, 0, 1, s0
	v_cmp_eq_u32_e64 s0, 3, v19
	v_or_b32_e32 v23, v23, v18
	v_cvt_f64_f32_e32 v[18:19], v10
	s_or_b32 vcc_lo, s0, vcc_lo
	v_add_co_ci_u32_e32 v10, vcc_lo, 0, v22, vcc_lo
	v_cmp_gt_i32_e32 vcc_lo, 1, v21
	v_and_or_b32 v16, 0x1ff, v17, v16
	v_bfe_u32 v26, v17, 20, 11
	v_cndmask_b32_e32 v22, v24, v23, vcc_lo
	v_cmp_ne_u32_e32 vcc_lo, 0, v14
	v_lshrrev_b32_e32 v23, 8, v17
	v_lshrrev_b32_e32 v17, 16, v17
	v_and_b32_e32 v24, 7, v22
	v_cndmask_b32_e64 v14, 0, 1, vcc_lo
	v_cmp_ne_u32_e32 vcc_lo, 0, v16
	v_cmp_eq_u32_e64 s0, 3, v24
	v_lshl_or_b32 v14, v14, 9, 0x7c00
	v_cndmask_b32_e64 v16, 0, 1, vcc_lo
	v_cmp_gt_i32_e32 vcc_lo, 31, v25
	v_mul_f64 v[18:19], v[18:19], s[4:5]
	v_lshrrev_b32_e32 v25, 16, v11
	v_and_or_b32 v16, 0xffe, v23, v16
	v_cndmask_b32_e32 v10, 0x7c00, v10, vcc_lo
	v_sub_nc_u32_e32 v23, 0x3f1, v26
	v_cmp_lt_i32_e32 vcc_lo, 5, v24
	v_or_b32_e32 v24, 0x1000, v16
	v_cndmask_b32_e64 v10, v10, v14, s1
	v_lshrrev_b32_e32 v14, 2, v22
	v_med3_i32 v23, v23, 0, 13
	s_or_b32 vcc_lo, s0, vcc_lo
	v_and_or_b32 v10, 0x8000, v15, v10
	v_add_co_ci_u32_e32 v14, vcc_lo, 0, v14, vcc_lo
	v_lshrrev_b32_e32 v22, v23, v24
	v_cmp_gt_i32_e32 vcc_lo, 31, v21
	v_and_b32_e32 v30, 0xffff, v10
	v_lshlrev_b32_e32 v15, v23, v22
	v_cndmask_b32_e32 v23, 0x7c00, v14, vcc_lo
	v_cmp_ne_u32_e32 vcc_lo, 0, v8
	v_and_or_b32 v18, 0x1ff, v19, v18
	v_mul_f16_sdwa v14, v67, v25 dst_sel:DWORD dst_unused:UNUSED_PAD src0_sel:WORD_1 src1_sel:DWORD
	v_lshrrev_b32_e32 v27, 8, v19
	v_bfe_u32 v28, v19, 20, 11
	v_cndmask_b32_e64 v8, 0, 1, vcc_lo
	v_cmp_ne_u32_e32 vcc_lo, v15, v24
	v_add_nc_u32_e32 v24, 0xfffffc10, v26
	v_fmac_f16_e32 v14, v67, v11
	v_mul_f16_sdwa v11, v67, v11 dst_sel:DWORD dst_unused:UNUSED_PAD src0_sel:WORD_1 src1_sel:DWORD
	v_lshl_or_b32 v8, v8, 9, 0x7c00
	v_cndmask_b32_e64 v15, 0, 1, vcc_lo
	v_cmp_ne_u32_e32 vcc_lo, 0, v18
	v_lshl_or_b32 v26, v24, 12, v16
	v_cvt_f32_f16_e32 v14, v14
	v_fma_f16 v11, v67, v25, -v11
	v_or_b32_e32 v22, v22, v15
	v_cndmask_b32_e64 v18, 0, 1, vcc_lo
	v_cmp_gt_i32_e32 vcc_lo, 1, v24
	v_cvt_f64_f32_e32 v[14:15], v14
	v_cvt_f32_f16_e32 v11, v11
	v_and_or_b32 v18, 0xffe, v27, v18
	v_cndmask_b32_e32 v22, v26, v22, vcc_lo
	v_sub_nc_u32_e32 v26, 0x3f1, v28
	v_cmp_eq_u32_e32 vcc_lo, 0x40f, v21
	v_or_b32_e32 v29, 0x1000, v18
	v_and_b32_e32 v27, 7, v22
	v_med3_i32 v26, v26, 0, 13
	v_cndmask_b32_e32 v21, v23, v8, vcc_lo
	v_lshrrev_b32_e32 v23, 16, v9
	v_add_co_u32 v8, vcc_lo, v12, s3
	v_add_co_ci_u32_e32 v9, vcc_lo, s2, v13, vcc_lo
	v_and_or_b32 v21, 0x8000, v23, v21
	v_lshrrev_b32_e32 v23, v26, v29
	v_cmp_lt_i32_e32 vcc_lo, 5, v27
	v_cmp_eq_u32_e64 s0, 3, v27
	v_lshrrev_b32_e32 v10, 2, v22
	v_mul_f64 v[12:13], v[14:15], s[4:5]
	v_lshlrev_b32_e32 v22, v26, v23
	v_add_nc_u32_e32 v15, 0xfffffc10, v28
	s_or_b32 vcc_lo, s0, vcc_lo
	global_store_dword v[8:9], v5, off
	v_add_co_ci_u32_e32 v10, vcc_lo, 0, v10, vcc_lo
	v_cmp_ne_u32_e32 vcc_lo, v22, v29
	v_lshl_or_b32 v22, v15, 12, v18
	v_lshl_or_b32 v5, v21, 16, v30
	v_cndmask_b32_e64 v14, 0, 1, vcc_lo
	v_cmp_ne_u32_e32 vcc_lo, 0, v16
	v_or_b32_e32 v14, v23, v14
	v_cndmask_b32_e64 v16, 0, 1, vcc_lo
	v_cmp_gt_i32_e32 vcc_lo, 31, v24
	v_and_or_b32 v12, 0x1ff, v13, v12
	v_lshl_or_b32 v16, v16, 9, 0x7c00
	v_cndmask_b32_e32 v23, 0x7c00, v10, vcc_lo
	v_cmp_gt_i32_e32 vcc_lo, 1, v15
	v_cvt_f64_f32_e32 v[10:11], v11
	v_cmp_ne_u32_e64 s1, 0, v12
	v_cndmask_b32_e32 v14, v22, v14, vcc_lo
	v_cmp_eq_u32_e32 vcc_lo, 0x40f, v24
	v_cndmask_b32_e64 v12, 0, 1, s1
	v_bfe_u32 v22, v13, 20, 11
	v_and_b32_e32 v21, 7, v14
	v_cndmask_b32_e32 v16, v23, v16, vcc_lo
	v_lshrrev_b32_e32 v14, 2, v14
	v_lshrrev_b32_e32 v23, 16, v20
	v_cmp_lt_i32_e32 vcc_lo, 5, v21
	v_cmp_eq_u32_e64 s0, 3, v21
	v_lshrrev_b32_e32 v21, 8, v13
	v_mul_f16_sdwa v25, v66, v23 dst_sel:DWORD dst_unused:UNUSED_PAD src0_sel:WORD_1 src1_sel:DWORD
	v_and_or_b32 v16, 0x8000, v17, v16
	s_or_b32 vcc_lo, s0, vcc_lo
	v_and_or_b32 v12, 0xffe, v21, v12
	v_add_co_ci_u32_e32 v14, vcc_lo, 0, v14, vcc_lo
	v_cmp_ne_u32_e32 vcc_lo, 0, v18
	v_mul_f64 v[10:11], v[10:11], s[4:5]
	v_sub_nc_u32_e32 v21, 0x3f1, v22
	v_or_b32_e32 v24, 0x1000, v12
	v_fmac_f16_e32 v25, v66, v20
	v_cndmask_b32_e64 v18, 0, 1, vcc_lo
	v_cmp_gt_i32_e32 vcc_lo, 31, v15
	v_med3_i32 v21, v21, 0, 13
	v_and_b32_e32 v16, 0xffff, v16
	v_lshl_or_b32 v18, v18, 9, 0x7c00
	v_cndmask_b32_e32 v14, 0x7c00, v14, vcc_lo
	v_cmp_eq_u32_e32 vcc_lo, 0x40f, v15
	v_lshrrev_b32_e32 v15, 16, v19
	v_cndmask_b32_e32 v14, v14, v18, vcc_lo
	v_lshrrev_b32_e32 v18, v21, v24
	v_add_co_u32 v8, vcc_lo, v8, s7
	v_add_co_ci_u32_e32 v9, vcc_lo, s6, v9, vcc_lo
	v_lshlrev_b32_e32 v19, v21, v18
	v_and_or_b32 v10, 0x1ff, v11, v10
	v_and_or_b32 v17, 0x8000, v15, v14
	v_cvt_f32_f16_e32 v14, v25
	v_add_nc_u32_e32 v21, 0xfffffc10, v22
	v_cmp_ne_u32_e32 vcc_lo, v19, v24
	v_lshrrev_b32_e32 v22, 8, v11
	v_bfe_u32 v24, v11, 20, 11
	v_cvt_f64_f32_e32 v[14:15], v14
	v_lshl_or_b32 v25, v17, 16, v16
	v_cndmask_b32_e64 v19, 0, 1, vcc_lo
	v_cmp_ne_u32_e32 vcc_lo, 0, v10
	global_store_dword v[8:9], v5, off
	v_or_b32_e32 v18, v18, v19
	v_cndmask_b32_e64 v10, 0, 1, vcc_lo
	v_lshl_or_b32 v19, v21, 12, v12
	v_cmp_gt_i32_e32 vcc_lo, 1, v21
	v_and_or_b32 v10, 0xffe, v22, v10
	v_sub_nc_u32_e32 v22, 0x3f1, v24
	v_cndmask_b32_e32 v18, v19, v18, vcc_lo
	v_add_co_u32 v16, vcc_lo, v8, s3
	v_or_b32_e32 v19, 0x1000, v10
	v_med3_i32 v22, v22, 0, 13
	v_and_b32_e32 v27, 7, v18
	v_add_co_ci_u32_e32 v17, vcc_lo, s2, v9, vcc_lo
	v_mul_f64 v[8:9], v[14:15], s[4:5]
	v_lshrrev_b32_e32 v26, v22, v19
	v_mul_f16_sdwa v14, v66, v20 dst_sel:DWORD dst_unused:UNUSED_PAD src0_sel:WORD_1 src1_sel:DWORD
	v_cmp_lt_i32_e32 vcc_lo, 5, v27
	v_cmp_eq_u32_e64 s0, 3, v27
	v_lshrrev_b32_e32 v15, 2, v18
	v_lshlrev_b32_e32 v5, v22, v26
	v_fma_f16 v14, v66, v23, -v14
	v_add_nc_u32_e32 v18, 0xfffffc10, v24
	s_or_b32 vcc_lo, s0, vcc_lo
	global_store_dword v[16:17], v25, off
	v_cmp_ne_u32_e64 s1, v5, v19
	v_add_co_ci_u32_e32 v19, vcc_lo, 0, v15, vcc_lo
	v_cvt_f32_f16_e32 v14, v14
	v_cmp_ne_u32_e32 vcc_lo, 0, v12
	v_cndmask_b32_e64 v5, 0, 1, s1
	v_lshl_or_b32 v20, v18, 12, v10
	v_cvt_f64_f32_e32 v[14:15], v14
	v_cndmask_b32_e64 v12, 0, 1, vcc_lo
	v_or_b32_e32 v5, v26, v5
	v_cmp_gt_i32_e32 vcc_lo, 1, v18
	v_and_or_b32 v8, 0x1ff, v9, v8
	v_lshrrev_b32_e32 v23, 8, v9
	v_lshl_or_b32 v12, v12, 9, 0x7c00
	v_bfe_u32 v24, v9, 20, 11
	v_cndmask_b32_e32 v20, v20, v5, vcc_lo
	v_cmp_gt_i32_e32 vcc_lo, 31, v21
	ds_read2_b32 v[4:5], v4 offset0:80 offset1:132
	v_and_b32_e32 v22, 7, v20
	v_cndmask_b32_e32 v19, 0x7c00, v19, vcc_lo
	v_cmp_ne_u32_e32 vcc_lo, 0, v8
	v_lshrrev_b32_e32 v20, 2, v20
	v_cmp_eq_u32_e64 s0, 3, v22
	v_cndmask_b32_e64 v8, 0, 1, vcc_lo
	v_cmp_eq_u32_e32 vcc_lo, 0x40f, v21
	v_lshrrev_b32_e32 v21, 16, v13
	v_and_or_b32 v8, 0xffe, v23, v8
	v_cndmask_b32_e32 v19, v19, v12, vcc_lo
	v_cmp_lt_i32_e32 vcc_lo, 5, v22
	v_mul_f64 v[12:13], v[14:15], s[4:5]
	v_sub_nc_u32_e32 v23, 0x3f1, v24
	v_or_b32_e32 v22, 0x1000, v8
	s_waitcnt lgkmcnt(0)
	v_lshrrev_b32_e32 v15, 16, v4
	s_or_b32 vcc_lo, s0, vcc_lo
	v_and_or_b32 v19, 0x8000, v21, v19
	v_add_co_ci_u32_e32 v20, vcc_lo, 0, v20, vcc_lo
	v_med3_i32 v14, v23, 0, 13
	v_cmp_ne_u32_e32 vcc_lo, 0, v10
	v_mul_f16_sdwa v23, v65, v15 dst_sel:DWORD dst_unused:UNUSED_PAD src0_sel:WORD_1 src1_sel:DWORD
	v_lshrrev_b32_e32 v21, 16, v11
	v_and_b32_e32 v19, 0xffff, v19
	v_lshrrev_b32_e32 v25, v14, v22
	v_cndmask_b32_e64 v10, 0, 1, vcc_lo
	v_cmp_gt_i32_e32 vcc_lo, 31, v18
	v_fmac_f16_e32 v23, v65, v4
	v_mul_f16_sdwa v4, v65, v4 dst_sel:DWORD dst_unused:UNUSED_PAD src0_sel:WORD_1 src1_sel:DWORD
	v_lshlrev_b32_e32 v14, v14, v25
	v_lshl_or_b32 v10, v10, 9, 0x7c00
	v_cndmask_b32_e32 v20, 0x7c00, v20, vcc_lo
	v_cmp_eq_u32_e32 vcc_lo, 0x40f, v18
	v_and_or_b32 v12, 0x1ff, v13, v12
	v_fma_f16 v4, v65, v15, -v4
	v_cndmask_b32_e32 v18, v20, v10, vcc_lo
	v_cmp_ne_u32_e32 vcc_lo, v14, v22
	v_add_nc_u32_e32 v20, 0xfffffc10, v24
	v_cvt_f32_f16_e32 v10, v23
	v_lshrrev_b32_e32 v23, 8, v13
	v_bfe_u32 v24, v13, 20, 11
	v_cndmask_b32_e64 v14, 0, 1, vcc_lo
	v_cmp_ne_u32_e32 vcc_lo, 0, v12
	v_lshl_or_b32 v22, v20, 12, v8
	v_cvt_f64_f32_e32 v[10:11], v10
	v_and_or_b32 v18, 0x8000, v21, v18
	v_or_b32_e32 v14, v25, v14
	v_cndmask_b32_e64 v12, 0, 1, vcc_lo
	v_cmp_gt_i32_e32 vcc_lo, 1, v20
	v_cvt_f32_f16_e32 v4, v4
	v_lshl_or_b32 v26, v18, 16, v19
	v_lshrrev_b32_e32 v13, 16, v13
	v_and_or_b32 v12, 0xffe, v23, v12
	v_cndmask_b32_e32 v21, v22, v14, vcc_lo
	v_sub_nc_u32_e32 v14, 0x3f1, v24
	v_or_b32_e32 v23, 0x1000, v12
	v_and_b32_e32 v22, 7, v21
	v_med3_i32 v25, v14, 0, 13
	v_lshrrev_b32_e32 v19, 2, v21
	v_add_co_u32 v14, s1, v16, s7
	v_cmp_lt_i32_e32 vcc_lo, 5, v22
	v_cmp_eq_u32_e64 s0, 3, v22
	v_lshrrev_b32_e32 v18, v25, v23
	v_mul_f64 v[10:11], v[10:11], s[4:5]
	v_add_co_ci_u32_e64 v15, s1, s6, v17, s1
	s_or_b32 vcc_lo, s0, vcc_lo
	v_cvt_f64_f32_e32 v[16:17], v4
	v_add_co_ci_u32_e32 v19, vcc_lo, 0, v19, vcc_lo
	v_lshlrev_b32_e32 v4, v25, v18
	v_cmp_ne_u32_e32 vcc_lo, 0, v8
	v_add_nc_u32_e32 v21, 0xfffffc10, v24
	global_store_dword v[14:15], v26, off
	v_cndmask_b32_e64 v8, 0, 1, vcc_lo
	v_cmp_ne_u32_e32 vcc_lo, v4, v23
	v_lshl_or_b32 v23, v21, 12, v12
	v_lshl_or_b32 v8, v8, 9, 0x7c00
	v_cndmask_b32_e64 v4, 0, 1, vcc_lo
	v_cmp_gt_i32_e32 vcc_lo, 31, v20
	v_and_or_b32 v10, 0x1ff, v11, v10
	v_or_b32_e32 v4, v18, v4
	v_cndmask_b32_e32 v22, 0x7c00, v19, vcc_lo
	v_cmp_eq_u32_e32 vcc_lo, 0x40f, v20
	ds_read2_b32 v[18:19], v3 offset0:64 offset1:116
	v_cndmask_b32_e32 v20, v22, v8, vcc_lo
	v_cmp_gt_i32_e32 vcc_lo, 1, v21
	v_lshrrev_b32_e32 v22, 16, v9
	v_mul_f64 v[8:9], v[16:17], s[4:5]
	v_lshrrev_b32_e32 v16, 8, v11
	v_cndmask_b32_e32 v4, v23, v4, vcc_lo
	v_cmp_ne_u32_e32 vcc_lo, 0, v10
	v_bfe_u32 v23, v11, 20, 11
	v_and_or_b32 v20, 0x8000, v22, v20
	v_lshrrev_b32_e32 v11, 16, v11
	v_and_b32_e32 v17, 7, v4
	v_cndmask_b32_e64 v10, 0, 1, vcc_lo
	v_lshrrev_b32_e32 v4, 2, v4
	v_cmp_lt_i32_e32 vcc_lo, 5, v17
	v_cmp_eq_u32_e64 s0, 3, v17
	v_and_or_b32 v10, 0xffe, v16, v10
	v_sub_nc_u32_e32 v16, 0x3f1, v23
	s_waitcnt lgkmcnt(0)
	v_lshrrev_b32_e32 v24, 16, v18
	v_add_nc_u32_e32 v23, 0xfffffc10, v23
	s_or_b32 vcc_lo, s0, vcc_lo
	v_or_b32_e32 v22, 0x1000, v10
	v_med3_i32 v16, v16, 0, 13
	v_add_co_ci_u32_e32 v4, vcc_lo, 0, v4, vcc_lo
	v_mul_f16_sdwa v17, v64, v24 dst_sel:DWORD dst_unused:UNUSED_PAD src0_sel:WORD_1 src1_sel:DWORD
	v_cmp_ne_u32_e32 vcc_lo, 0, v12
	v_lshrrev_b32_e32 v25, v16, v22
	v_and_or_b32 v8, 0x1ff, v9, v8
	v_lshrrev_b32_e32 v27, 8, v9
	v_fmac_f16_e32 v17, v64, v18
	v_cndmask_b32_e64 v12, 0, 1, vcc_lo
	v_cmp_gt_i32_e32 vcc_lo, 31, v21
	v_lshlrev_b32_e32 v26, v16, v25
	v_bfe_u32 v28, v9, 20, 11
	v_cvt_f32_f16_e32 v16, v17
	v_lshl_or_b32 v12, v12, 9, 0x7c00
	v_cndmask_b32_e32 v4, 0x7c00, v4, vcc_lo
	v_cmp_ne_u32_e32 vcc_lo, 0, v8
	v_mul_f16_sdwa v18, v64, v18 dst_sel:DWORD dst_unused:UNUSED_PAD src0_sel:WORD_1 src1_sel:DWORD
	v_cvt_f64_f32_e32 v[16:17], v16
	v_cndmask_b32_e64 v8, 0, 1, vcc_lo
	v_cmp_ne_u32_e32 vcc_lo, v26, v22
	v_sub_nc_u32_e32 v26, 0x3f1, v28
	v_and_or_b32 v8, 0xffe, v27, v8
	v_cndmask_b32_e64 v22, 0, 1, vcc_lo
	v_cmp_eq_u32_e32 vcc_lo, 0x40f, v21
	v_lshl_or_b32 v21, v23, 12, v10
	v_cndmask_b32_e32 v4, v4, v12, vcc_lo
	v_or_b32_e32 v12, v25, v22
	v_cmp_gt_i32_e32 vcc_lo, 1, v23
	v_or_b32_e32 v22, 0x1000, v8
	v_med3_i32 v25, v26, 0, 13
	v_and_or_b32 v4, 0x8000, v13, v4
	v_cndmask_b32_e32 v21, v21, v12, vcc_lo
	v_fma_f16 v12, v64, v24, -v18
	v_lshrrev_b32_e32 v26, v25, v22
	v_and_b32_e32 v18, 0xffff, v20
	v_and_b32_e32 v20, 7, v21
	v_lshrrev_b32_e32 v21, 2, v21
	v_lshlrev_b32_e32 v24, v25, v26
	v_cvt_f32_f16_e32 v25, v12
	v_mul_f64 v[12:13], v[16:17], s[4:5]
	v_cmp_lt_i32_e32 vcc_lo, 5, v20
	v_cmp_eq_u32_e64 s0, 3, v20
	v_cmp_ne_u32_e64 s1, v24, v22
	v_cvt_f64_f32_e32 v[16:17], v25
	v_lshl_or_b32 v4, v4, 16, v18
	v_add_nc_u32_e32 v20, 0xfffffc10, v28
	s_or_b32 vcc_lo, s0, vcc_lo
	v_cndmask_b32_e64 v18, 0, 1, s1
	v_add_co_ci_u32_e32 v21, vcc_lo, 0, v21, vcc_lo
	v_cmp_ne_u32_e32 vcc_lo, 0, v10
	v_lshl_or_b32 v22, v20, 12, v8
	v_or_b32_e32 v18, v26, v18
	v_add_co_u32 v14, s1, v14, s3
	v_cndmask_b32_e64 v10, 0, 1, vcc_lo
	v_cmp_gt_i32_e32 vcc_lo, 1, v20
	v_add_co_ci_u32_e64 v15, s1, s2, v15, s1
	v_lshl_or_b32 v10, v10, 9, 0x7c00
	v_cndmask_b32_e32 v18, v22, v18, vcc_lo
	v_and_or_b32 v12, 0x1ff, v13, v12
	v_cmp_gt_i32_e32 vcc_lo, 31, v23
	v_lshrrev_b32_e32 v24, 8, v13
	v_mul_f64 v[16:17], v[16:17], s[4:5]
	v_and_b32_e32 v22, 7, v18
	v_bfe_u32 v25, v13, 20, 11
	v_cndmask_b32_e32 v21, 0x7c00, v21, vcc_lo
	v_cmp_ne_u32_e32 vcc_lo, 0, v12
	global_store_dword v[14:15], v4, off
	v_cmp_eq_u32_e64 s0, 3, v22
	v_mul_f16_sdwa v4, v63, v5 dst_sel:DWORD dst_unused:UNUSED_PAD src0_sel:WORD_1 src1_sel:DWORD
	v_cndmask_b32_e64 v12, 0, 1, vcc_lo
	v_cmp_eq_u32_e32 vcc_lo, 0x40f, v23
	v_lshrrev_b32_e32 v23, 16, v5
	v_and_or_b32 v12, 0xffe, v24, v12
	v_cndmask_b32_e32 v10, v21, v10, vcc_lo
	v_cmp_lt_i32_e32 vcc_lo, 5, v22
	v_sub_nc_u32_e32 v21, 0x3f1, v25
	v_mul_f16_sdwa v26, v63, v23 dst_sel:DWORD dst_unused:UNUSED_PAD src0_sel:WORD_1 src1_sel:DWORD
	v_fma_f16 v4, v63, v23, -v4
	v_and_or_b32 v10, 0x8000, v11, v10
	v_lshrrev_b32_e32 v11, 2, v18
	s_or_b32 vcc_lo, s0, vcc_lo
	v_or_b32_e32 v18, 0x1000, v12
	v_med3_i32 v21, v21, 0, 13
	v_and_or_b32 v16, 0x1ff, v17, v16
	v_add_co_ci_u32_e32 v11, vcc_lo, 0, v11, vcc_lo
	v_cmp_ne_u32_e32 vcc_lo, 0, v8
	v_lshrrev_b32_e32 v22, v21, v18
	v_lshrrev_b32_e32 v24, 8, v17
	v_bfe_u32 v27, v17, 20, 11
	v_fmac_f16_e32 v26, v63, v5
	v_cndmask_b32_e64 v8, 0, 1, vcc_lo
	v_cmp_gt_i32_e32 vcc_lo, 31, v20
	v_lshlrev_b32_e32 v21, v21, v22
	v_and_b32_e32 v10, 0xffff, v10
	v_lshl_or_b32 v8, v8, 9, 0x7c00
	v_cndmask_b32_e32 v11, 0x7c00, v11, vcc_lo
	v_cmp_ne_u32_e32 vcc_lo, 0, v16
	v_cndmask_b32_e64 v16, 0, 1, vcc_lo
	v_cmp_eq_u32_e32 vcc_lo, 0x40f, v20
	v_add_nc_u32_e32 v20, 0xfffffc10, v25
	v_and_or_b32 v16, 0xffe, v24, v16
	v_cndmask_b32_e32 v11, v11, v8, vcc_lo
	v_sub_nc_u32_e32 v8, 0x3f1, v27
	v_cmp_ne_u32_e32 vcc_lo, v21, v18
	v_cvt_f32_f16_e32 v21, v26
	v_or_b32_e32 v24, 0x1000, v16
	v_lshrrev_b32_e32 v26, 16, v9
	v_med3_i32 v25, v8, 0, 13
	v_cndmask_b32_e64 v18, 0, 1, vcc_lo
	v_cvt_f64_f32_e32 v[8:9], v21
	v_lshl_or_b32 v21, v20, 12, v12
	v_cmp_gt_i32_e32 vcc_lo, 1, v20
	v_and_or_b32 v11, 0x8000, v26, v11
	v_or_b32_e32 v18, v22, v18
	v_lshrrev_b32_e32 v22, v25, v24
	v_lshrrev_b32_e32 v26, 16, v13
	v_cndmask_b32_e32 v18, v21, v18, vcc_lo
	v_lshlrev_b32_e32 v21, v25, v22
	v_lshl_or_b32 v25, v11, 16, v10
	v_and_b32_e32 v5, 7, v18
	v_cmp_ne_u32_e32 vcc_lo, v21, v24
	v_add_nc_u32_e32 v21, 0xfffffc10, v27
	v_lshrrev_b32_e32 v18, 2, v18
	v_lshrrev_b32_e32 v27, 16, v19
	v_cmp_eq_u32_e64 s0, 3, v5
	v_cndmask_b32_e64 v10, 0, 1, vcc_lo
	v_cmp_lt_i32_e32 vcc_lo, 5, v5
	v_lshl_or_b32 v11, v21, 12, v16
	v_cmp_gt_i32_e64 s1, 1, v21
	v_or_b32_e32 v10, v22, v10
	v_cvt_f32_f16_e32 v22, v4
	v_mul_f64 v[4:5], v[8:9], s[4:5]
	s_or_b32 vcc_lo, s0, vcc_lo
	v_add_co_ci_u32_e32 v18, vcc_lo, 0, v18, vcc_lo
	v_cvt_f64_f32_e32 v[8:9], v22
	v_cmp_ne_u32_e32 vcc_lo, 0, v12
	v_cndmask_b32_e64 v23, v11, v10, s1
	v_cmp_eq_u32_e64 s1, 0x40f, v20
	v_cndmask_b32_e64 v12, 0, 1, vcc_lo
	v_add_co_u32 v10, vcc_lo, v14, s7
	v_add_co_ci_u32_e32 v11, vcc_lo, s6, v15, vcc_lo
	v_and_b32_e32 v22, 7, v23
	v_cmp_gt_i32_e32 vcc_lo, 31, v20
	v_lshl_or_b32 v12, v12, 9, 0x7c00
	v_lshrrev_b32_e32 v15, 2, v23
	global_store_dword v[10:11], v25, off
	v_cmp_eq_u32_e64 s0, 3, v22
	v_cndmask_b32_e32 v14, 0x7c00, v18, vcc_lo
	v_cmp_lt_i32_e32 vcc_lo, 5, v22
	v_and_or_b32 v4, 0x1ff, v5, v4
	v_lshrrev_b32_e32 v20, 8, v5
	v_bfe_u32 v22, v5, 20, 11
	v_mul_f64 v[8:9], v[8:9], s[4:5]
	s_or_b32 vcc_lo, s0, vcc_lo
	v_cndmask_b32_e64 v18, v14, v12, s1
	v_add_co_ci_u32_e32 v12, vcc_lo, 0, v15, vcc_lo
	v_cmp_ne_u32_e32 vcc_lo, 0, v4
	v_mad_u64_u32 v[14:15], null, s8, v61, 0
	v_and_or_b32 v18, 0x8000, v26, v18
	v_cndmask_b32_e64 v4, 0, 1, vcc_lo
	v_cmp_ne_u32_e32 vcc_lo, 0, v16
	v_and_b32_e32 v18, 0xffff, v18
	v_and_or_b32 v23, 0xffe, v20, v4
	v_sub_nc_u32_e32 v4, 0x3f1, v22
	v_cndmask_b32_e64 v16, 0, 1, vcc_lo
	v_cmp_gt_i32_e32 vcc_lo, 31, v21
	v_add_nc_u32_e32 v22, 0xfffffc10, v22
	v_or_b32_e32 v20, 0x1000, v23
	v_med3_i32 v24, v4, 0, 13
	v_lshl_or_b32 v16, v16, 9, 0x7c00
	v_cndmask_b32_e32 v12, 0x7c00, v12, vcc_lo
	v_cmp_eq_u32_e32 vcc_lo, 0x40f, v21
	v_mov_b32_e32 v4, v15
	v_lshrrev_b32_e32 v15, v24, v20
	v_and_or_b32 v8, 0x1ff, v9, v8
	v_lshrrev_b32_e32 v21, 8, v9
	v_cndmask_b32_e32 v16, v12, v16, vcc_lo
	v_mad_u64_u32 v[12:13], null, s9, v61, v[4:5]
	v_lshlrev_b32_e32 v4, v24, v15
	v_cmp_ne_u32_e32 vcc_lo, 0, v8
	v_mul_f16_sdwa v13, v62, v27 dst_sel:DWORD dst_unused:UNUSED_PAD src0_sel:WORD_1 src1_sel:DWORD
	v_bfe_u32 v24, v9, 20, 11
	v_lshrrev_b32_e32 v9, 16, v9
	v_cndmask_b32_e64 v8, 0, 1, vcc_lo
	v_cmp_ne_u32_e32 vcc_lo, v4, v20
	v_fmac_f16_e32 v13, v62, v19
	v_sub_nc_u32_e32 v20, 0x3f1, v24
	v_mul_f16_sdwa v19, v62, v19 dst_sel:DWORD dst_unused:UNUSED_PAD src0_sel:WORD_1 src1_sel:DWORD
	v_and_or_b32 v8, 0xffe, v21, v8
	v_cndmask_b32_e64 v4, 0, 1, vcc_lo
	v_cvt_f32_f16_e32 v13, v13
	v_cmp_gt_i32_e32 vcc_lo, 1, v22
	v_med3_i32 v29, v20, 0, 13
	v_or_b32_e32 v28, 0x1000, v8
	v_or_b32_e32 v4, v15, v4
	v_lshl_or_b32 v15, v22, 12, v23
	v_cvt_f64_f32_e32 v[20:21], v13
	v_lshrrev_b32_e32 v13, 16, v17
	v_lshrrev_b32_e32 v17, v29, v28
	v_add_nc_u32_e32 v24, 0xfffffc10, v24
	v_cndmask_b32_e32 v4, v15, v4, vcc_lo
	v_mov_b32_e32 v15, v12
	v_and_or_b32 v26, 0x8000, v13, v16
	v_lshlrev_b32_e32 v12, v29, v17
	v_fma_f16 v19, v62, v27, -v19
	v_and_b32_e32 v25, 7, v4
	v_lshrrev_b32_e32 v4, 2, v4
	v_lshlrev_b64 v[14:15], 2, v[14:15]
	v_cmp_ne_u32_e64 s1, v12, v28
	v_cvt_f32_f16_e32 v19, v19
	v_cmp_lt_i32_e32 vcc_lo, 5, v25
	v_cmp_eq_u32_e64 s0, 3, v25
	v_lshl_or_b32 v18, v26, 16, v18
	v_cndmask_b32_e64 v16, 0, 1, s1
	s_or_b32 vcc_lo, s0, vcc_lo
	v_add_co_ci_u32_e32 v4, vcc_lo, 0, v4, vcc_lo
	v_cmp_ne_u32_e32 vcc_lo, 0, v23
	v_mul_f64 v[12:13], v[20:21], s[4:5]
	v_or_b32_e32 v16, v17, v16
	v_lshl_or_b32 v17, v24, 12, v8
	v_cndmask_b32_e64 v20, 0, 1, vcc_lo
	v_cmp_gt_i32_e32 vcc_lo, 1, v24
	v_lshl_or_b32 v20, v20, 9, 0x7c00
	v_cndmask_b32_e32 v21, v17, v16, vcc_lo
	v_cmp_gt_i32_e32 vcc_lo, 31, v22
	v_cvt_f64_f32_e32 v[16:17], v19
	v_and_b32_e32 v19, 7, v21
	v_cndmask_b32_e32 v4, 0x7c00, v4, vcc_lo
	v_cmp_eq_u32_e32 vcc_lo, 0x40f, v22
	v_lshrrev_b32_e32 v22, 16, v5
	v_cmp_eq_u32_e64 s0, 3, v19
	v_cndmask_b32_e32 v20, v4, v20, vcc_lo
	ds_read2_b32 v[4:5], v2 offset0:56 offset1:108
	v_cmp_lt_i32_e32 vcc_lo, 5, v19
	v_lshrrev_b32_e32 v19, 2, v21
	v_and_or_b32 v12, 0x1ff, v13, v12
	v_and_or_b32 v20, 0x8000, v22, v20
	v_lshrrev_b32_e32 v21, 8, v13
	s_or_b32 vcc_lo, s0, vcc_lo
	v_bfe_u32 v22, v13, 20, 11
	v_add_co_ci_u32_e32 v19, vcc_lo, 0, v19, vcc_lo
	v_cmp_ne_u32_e32 vcc_lo, 0, v12
	v_mul_f64 v[16:17], v[16:17], s[4:5]
	v_and_b32_e32 v20, 0xffff, v20
	v_lshrrev_b32_e32 v13, 16, v13
	v_cndmask_b32_e64 v12, 0, 1, vcc_lo
	v_cmp_ne_u32_e32 vcc_lo, 0, v8
	s_waitcnt lgkmcnt(0)
	v_lshrrev_b32_e32 v25, 16, v4
	v_cndmask_b32_e64 v8, 0, 1, vcc_lo
	v_cmp_gt_i32_e32 vcc_lo, 31, v24
	v_and_or_b32 v12, 0xffe, v21, v12
	v_sub_nc_u32_e32 v21, 0x3f1, v22
	v_add_nc_u32_e32 v22, 0xfffffc10, v22
	v_lshl_or_b32 v8, v8, 9, 0x7c00
	v_cndmask_b32_e32 v19, 0x7c00, v19, vcc_lo
	v_cmp_eq_u32_e32 vcc_lo, 0x40f, v24
	v_mul_f16_sdwa v24, v60, v25 dst_sel:DWORD dst_unused:UNUSED_PAD src0_sel:WORD_1 src1_sel:DWORD
	v_or_b32_e32 v23, 0x1000, v12
	v_med3_i32 v21, v21, 0, 13
	v_cndmask_b32_e32 v8, v19, v8, vcc_lo
	v_fmac_f16_e32 v24, v60, v4
	v_add_co_u32 v6, vcc_lo, v6, v14
	v_lshrrev_b32_e32 v19, v21, v23
	v_add_co_ci_u32_e32 v7, vcc_lo, v7, v15, vcc_lo
	v_and_or_b32 v15, 0x1ff, v17, v16
	v_cvt_f32_f16_e32 v16, v24
	v_lshlrev_b32_e32 v14, v21, v19
	v_and_or_b32 v26, 0x8000, v9, v8
	v_mad_u64_u32 v[8:9], null, 0xd0, s8, v[10:11]
	v_cvt_f64_f32_e32 v[10:11], v16
	v_cmp_ne_u32_e32 vcc_lo, v14, v23
	v_lshrrev_b32_e32 v16, 8, v17
	v_bfe_u32 v21, v17, 20, 11
	v_lshl_or_b32 v24, v22, 12, v12
	global_store_dword v[6:7], v18, off
	v_cndmask_b32_e64 v14, 0, 1, vcc_lo
	v_cmp_ne_u32_e32 vcc_lo, 0, v15
	v_sub_nc_u32_e32 v23, 0x3f1, v21
	v_lshl_or_b32 v18, v26, 16, v20
	v_mul_f16_sdwa v4, v60, v4 dst_sel:DWORD dst_unused:UNUSED_PAD src0_sel:WORD_1 src1_sel:DWORD
	v_or_b32_e32 v19, v19, v14
	v_cndmask_b32_e64 v15, 0, 1, vcc_lo
	v_cmp_gt_i32_e32 vcc_lo, 1, v22
	v_med3_i32 v23, v23, 0, 13
	v_fma_f16 v4, v60, v25, -v4
	v_and_or_b32 v16, 0xffe, v16, v15
	v_cndmask_b32_e32 v19, v24, v19, vcc_lo
	v_cvt_f32_f16_e32 v4, v4
	v_mad_u64_u32 v[14:15], null, 0xd0, s9, v[9:10]
	v_or_b32_e32 v15, 0x1000, v16
	v_and_b32_e32 v24, 7, v19
	v_mul_f64 v[6:7], v[10:11], s[4:5]
	v_lshrrev_b32_e32 v11, 2, v19
	v_lshrrev_b32_e32 v20, v23, v15
	v_cmp_lt_i32_e32 vcc_lo, 5, v24
	v_cmp_eq_u32_e64 s0, 3, v24
	v_mov_b32_e32 v9, v14
	v_add_nc_u32_e32 v14, 0xfffffc10, v21
	v_lshlrev_b32_e32 v10, v23, v20
	s_or_b32 vcc_lo, s0, vcc_lo
	global_store_dword v[8:9], v18, off
	v_cmp_ne_u32_e64 s1, v10, v15
	v_add_co_ci_u32_e32 v15, vcc_lo, 0, v11, vcc_lo
	v_cmp_ne_u32_e32 vcc_lo, 0, v12
	v_cndmask_b32_e64 v10, 0, 1, s1
	v_cndmask_b32_e64 v12, 0, 1, vcc_lo
	v_cmp_gt_i32_e32 vcc_lo, 1, v14
	v_or_b32_e32 v19, v20, v10
	v_cvt_f64_f32_e32 v[10:11], v4
	v_lshl_or_b32 v20, v14, 12, v16
	v_and_or_b32 v6, 0x1ff, v7, v6
	ds_read2_b32 v[3:4], v3 offset0:168 offset1:220
	v_lshl_or_b32 v12, v12, 9, 0x7c00
	v_lshrrev_b32_e32 v21, 8, v7
	v_cndmask_b32_e32 v19, v20, v19, vcc_lo
	v_cmp_gt_i32_e32 vcc_lo, 31, v22
	v_bfe_u32 v23, v7, 20, 11
	v_and_b32_e32 v20, 7, v19
	v_cndmask_b32_e32 v15, 0x7c00, v15, vcc_lo
	v_cmp_ne_u32_e32 vcc_lo, 0, v6
	v_lshrrev_b32_e32 v19, 2, v19
	v_cmp_eq_u32_e64 s0, 3, v20
	v_cndmask_b32_e64 v6, 0, 1, vcc_lo
	v_cmp_eq_u32_e32 vcc_lo, 0x40f, v22
	v_mul_f64 v[10:11], v[10:11], s[4:5]
	v_and_or_b32 v6, 0xffe, v21, v6
	v_cndmask_b32_e32 v12, v15, v12, vcc_lo
	v_cmp_lt_i32_e32 vcc_lo, 5, v20
	v_sub_nc_u32_e32 v15, 0x3f1, v23
	s_waitcnt lgkmcnt(0)
	v_lshrrev_b32_e32 v21, 16, v3
	v_or_b32_e32 v20, 0x1000, v6
	v_and_or_b32 v25, 0x8000, v13, v12
	s_or_b32 vcc_lo, s0, vcc_lo
	v_med3_i32 v15, v15, 0, 13
	v_add_co_ci_u32_e32 v19, vcc_lo, 0, v19, vcc_lo
	v_cmp_ne_u32_e32 vcc_lo, 0, v16
	v_mul_f16_sdwa v22, v59, v21 dst_sel:DWORD dst_unused:UNUSED_PAD src0_sel:WORD_1 src1_sel:DWORD
	v_lshrrev_b32_e32 v24, v15, v20
	v_cndmask_b32_e64 v16, 0, 1, vcc_lo
	v_cmp_gt_i32_e32 vcc_lo, 31, v14
	v_lshlrev_b32_e32 v15, v15, v24
	v_fmac_f16_e32 v22, v59, v3
	v_mul_f16_sdwa v3, v59, v3 dst_sel:DWORD dst_unused:UNUSED_PAD src0_sel:WORD_1 src1_sel:DWORD
	v_lshl_or_b32 v16, v16, 9, 0x7c00
	v_cndmask_b32_e32 v19, 0x7c00, v19, vcc_lo
	v_cmp_eq_u32_e32 vcc_lo, 0x40f, v14
	v_and_or_b32 v10, 0x1ff, v11, v10
	v_cvt_f32_f16_e32 v12, v22
	v_and_b32_e32 v22, 0xffff, v25
	v_fma_f16 v3, v59, v21, -v3
	v_cndmask_b32_e32 v14, v19, v16, vcc_lo
	v_cmp_ne_u32_e32 vcc_lo, v15, v20
	v_cvt_f64_f32_e32 v[12:13], v12
	v_lshrrev_b32_e32 v16, 16, v17
	v_add_nc_u32_e32 v17, 0xfffffc10, v23
	v_lshrrev_b32_e32 v19, 8, v11
	v_cndmask_b32_e64 v15, 0, 1, vcc_lo
	v_cmp_ne_u32_e32 vcc_lo, 0, v10
	v_bfe_u32 v20, v11, 20, 11
	v_and_or_b32 v14, 0x8000, v16, v14
	v_lshl_or_b32 v16, v17, 12, v6
	v_or_b32_e32 v15, v24, v15
	v_cndmask_b32_e64 v10, 0, 1, vcc_lo
	v_cmp_gt_i32_e32 vcc_lo, 1, v17
	v_lshl_or_b32 v18, v14, 16, v22
	v_cvt_f32_f16_e32 v3, v3
	v_lshrrev_b32_e32 v24, 16, v7
	v_and_or_b32 v10, 0xffe, v19, v10
	v_sub_nc_u32_e32 v19, 0x3f1, v20
	v_cndmask_b32_e32 v15, v16, v15, vcc_lo
	v_add_co_u32 v8, vcc_lo, v8, s3
	v_or_b32_e32 v16, 0x1000, v10
	v_med3_i32 v19, v19, 0, 13
	v_and_b32_e32 v14, 7, v15
	v_mul_f64 v[12:13], v[12:13], s[4:5]
	v_add_co_ci_u32_e32 v9, vcc_lo, s2, v9, vcc_lo
	v_lshrrev_b32_e32 v22, v19, v16
	v_cmp_lt_i32_e32 vcc_lo, 5, v14
	v_cmp_eq_u32_e64 s0, 3, v14
	v_lshrrev_b32_e32 v14, 2, v15
	global_store_dword v[8:9], v18, off
	v_lshlrev_b32_e32 v19, v19, v22
	s_or_b32 vcc_lo, s0, vcc_lo
	v_cmp_ne_u32_e64 s1, v19, v16
	v_add_co_ci_u32_e32 v19, vcc_lo, 0, v14, vcc_lo
	v_add_nc_u32_e32 v16, 0xfffffc10, v20
	v_cmp_ne_u32_e32 vcc_lo, 0, v6
	v_cndmask_b32_e64 v15, 0, 1, s1
	v_lshl_or_b32 v21, v16, 12, v10
	v_cndmask_b32_e64 v6, 0, 1, vcc_lo
	v_or_b32_e32 v20, v22, v15
	v_cvt_f64_f32_e32 v[14:15], v3
	v_cmp_gt_i32_e32 vcc_lo, 1, v16
	v_and_or_b32 v12, 0x1ff, v13, v12
	v_lshl_or_b32 v6, v6, 9, 0x7c00
	v_bfe_u32 v22, v13, 20, 11
	v_cndmask_b32_e32 v3, v21, v20, vcc_lo
	v_cmp_gt_i32_e32 vcc_lo, 31, v17
	v_lshrrev_b32_e32 v21, 8, v13
	v_lshrrev_b32_e32 v13, 16, v13
	v_and_b32_e32 v20, 7, v3
	v_cndmask_b32_e32 v19, 0x7c00, v19, vcc_lo
	v_cmp_ne_u32_e32 vcc_lo, 0, v12
	v_lshrrev_b32_e32 v3, 2, v3
	v_cmp_eq_u32_e64 s0, 3, v20
	v_cndmask_b32_e64 v12, 0, 1, vcc_lo
	v_cmp_eq_u32_e32 vcc_lo, 0x40f, v17
	v_mul_f64 v[14:15], v[14:15], s[4:5]
	v_and_or_b32 v12, 0xffe, v21, v12
	v_cndmask_b32_e32 v17, v19, v6, vcc_lo
	v_cmp_lt_i32_e32 vcc_lo, 5, v20
	v_sub_nc_u32_e32 v6, 0x3f1, v22
	v_lshrrev_b32_e32 v19, 16, v5
	v_or_b32_e32 v20, 0x1000, v12
	v_and_or_b32 v17, 0x8000, v24, v17
	s_or_b32 vcc_lo, s0, vcc_lo
	v_med3_i32 v6, v6, 0, 13
	v_add_co_ci_u32_e32 v3, vcc_lo, 0, v3, vcc_lo
	v_mul_f16_sdwa v21, v58, v19 dst_sel:DWORD dst_unused:UNUSED_PAD src0_sel:WORD_1 src1_sel:DWORD
	v_cmp_ne_u32_e32 vcc_lo, 0, v10
	v_lshrrev_b32_e32 v23, v6, v20
	v_and_b32_e32 v17, 0xffff, v17
	v_fmac_f16_e32 v21, v58, v5
	v_cndmask_b32_e64 v10, 0, 1, vcc_lo
	v_cmp_gt_i32_e32 vcc_lo, 31, v16
	v_mul_f16_sdwa v5, v58, v5 dst_sel:DWORD dst_unused:UNUSED_PAD src0_sel:WORD_1 src1_sel:DWORD
	v_cvt_f32_f16_e32 v7, v21
	v_lshl_or_b32 v10, v10, 9, 0x7c00
	v_cndmask_b32_e32 v3, 0x7c00, v3, vcc_lo
	v_lshlrev_b32_e32 v21, v6, v23
	v_cmp_eq_u32_e32 vcc_lo, 0x40f, v16
	v_and_or_b32 v14, 0x1ff, v15, v14
	v_add_nc_u32_e32 v16, 0xfffffc10, v22
	v_cvt_f64_f32_e32 v[6:7], v7
	v_fma_f16 v5, v58, v19, -v5
	v_cndmask_b32_e32 v3, v3, v10, vcc_lo
	v_cmp_ne_u32_e32 vcc_lo, v21, v20
	v_lshrrev_b32_e32 v10, 16, v11
	v_lshrrev_b32_e32 v20, 8, v15
	v_bfe_u32 v21, v15, 20, 11
	v_cvt_f32_f16_e32 v5, v5
	v_cndmask_b32_e64 v11, 0, 1, vcc_lo
	v_cmp_ne_u32_e32 vcc_lo, 0, v14
	v_and_or_b32 v3, 0x8000, v10, v3
	v_lshrrev_b32_e32 v15, 16, v15
	v_or_b32_e32 v10, v23, v11
	v_lshl_or_b32 v11, v16, 12, v12
	v_cndmask_b32_e64 v14, 0, 1, vcc_lo
	v_cmp_gt_i32_e32 vcc_lo, 1, v16
	v_lshl_or_b32 v3, v3, 16, v17
	v_and_or_b32 v14, 0xffe, v20, v14
	v_cndmask_b32_e32 v10, v11, v10, vcc_lo
	v_sub_nc_u32_e32 v11, 0x3f1, v21
	v_add_co_u32 v8, vcc_lo, v8, s7
	v_or_b32_e32 v18, 0x1000, v14
	v_and_b32_e32 v17, 7, v10
	v_med3_i32 v11, v11, 0, 13
	v_add_co_ci_u32_e32 v9, vcc_lo, s6, v9, vcc_lo
	v_mul_f64 v[6:7], v[6:7], s[4:5]
	v_cmp_lt_i32_e32 vcc_lo, 5, v17
	v_lshrrev_b32_e32 v20, v11, v18
	v_cmp_eq_u32_e64 s0, 3, v17
	global_store_dword v[8:9], v3, off
	v_lshrrev_b32_e32 v3, 2, v10
	v_lshlrev_b32_e32 v10, v11, v20
	s_or_b32 vcc_lo, s0, vcc_lo
	v_add_co_ci_u32_e32 v3, vcc_lo, 0, v3, vcc_lo
	v_cmp_ne_u32_e32 vcc_lo, v10, v18
	v_add_nc_u32_e32 v18, 0xfffffc10, v21
	v_cvt_f64_f32_e32 v[10:11], v5
	v_lshrrev_b32_e32 v21, 16, v4
	v_cndmask_b32_e64 v17, 0, 1, vcc_lo
	v_cmp_ne_u32_e32 vcc_lo, 0, v12
	v_or_b32_e32 v5, v20, v17
	v_cndmask_b32_e64 v12, 0, 1, vcc_lo
	v_cmp_gt_i32_e32 vcc_lo, 31, v16
	v_lshl_or_b32 v17, v18, 12, v14
	v_and_or_b32 v6, 0x1ff, v7, v6
	v_bfe_u32 v19, v7, 20, 11
	v_lshl_or_b32 v12, v12, 9, 0x7c00
	v_cndmask_b32_e32 v3, 0x7c00, v3, vcc_lo
	v_cmp_gt_i32_e32 vcc_lo, 1, v18
	v_sub_nc_u32_e32 v20, 0x3f1, v19
	v_add_nc_u32_e32 v19, 0xfffffc10, v19
	v_cndmask_b32_e32 v17, v17, v5, vcc_lo
	v_cmp_ne_u32_e32 vcc_lo, 0, v6
	v_lshrrev_b32_e32 v6, 8, v7
	v_lshrrev_b32_e32 v7, 16, v7
	v_cndmask_b32_e64 v5, 0, 1, vcc_lo
	v_cmp_eq_u32_e32 vcc_lo, 0x40f, v16
	v_and_or_b32 v16, 0xffe, v6, v5
	v_cndmask_b32_e32 v3, v3, v12, vcc_lo
	v_and_b32_e32 v12, 7, v17
	v_mul_f64 v[5:6], v[10:11], s[4:5]
	v_med3_i32 v10, v20, 0, 13
	v_or_b32_e32 v22, 0x1000, v16
	v_mul_f16_sdwa v11, v57, v21 dst_sel:DWORD dst_unused:UNUSED_PAD src0_sel:WORD_1 src1_sel:DWORD
	v_cmp_lt_i32_e32 vcc_lo, 5, v12
	v_cmp_eq_u32_e64 s0, 3, v12
	v_lshrrev_b32_e32 v12, 2, v17
	v_and_or_b32 v3, 0x8000, v13, v3
	v_lshrrev_b32_e32 v13, v10, v22
	v_fmac_f16_e32 v11, v57, v4
	s_or_b32 vcc_lo, s0, vcc_lo
	v_mul_f16_sdwa v4, v57, v4 dst_sel:DWORD dst_unused:UNUSED_PAD src0_sel:WORD_1 src1_sel:DWORD
	v_add_co_ci_u32_e32 v12, vcc_lo, 0, v12, vcc_lo
	v_cmp_ne_u32_e32 vcc_lo, 0, v14
	v_lshlrev_b32_e32 v17, v10, v13
	v_cvt_f32_f16_e32 v11, v11
	v_and_b32_e32 v3, 0xffff, v3
	v_cndmask_b32_e64 v14, 0, 1, vcc_lo
	v_cmp_gt_i32_e32 vcc_lo, 31, v18
	v_cvt_f64_f32_e32 v[10:11], v11
	v_and_or_b32 v5, 0x1ff, v6, v5
	v_lshl_or_b32 v14, v14, 9, 0x7c00
	v_cndmask_b32_e32 v12, 0x7c00, v12, vcc_lo
	v_cmp_ne_u32_e32 vcc_lo, v17, v22
	v_cndmask_b32_e64 v17, 0, 1, vcc_lo
	v_cmp_eq_u32_e32 vcc_lo, 0x40f, v18
	v_bfe_u32 v18, v6, 20, 11
	v_or_b32_e32 v13, v13, v17
	v_cndmask_b32_e32 v12, v12, v14, vcc_lo
	v_cmp_ne_u32_e32 vcc_lo, 0, v5
	v_lshl_or_b32 v14, v19, 12, v16
	v_lshrrev_b32_e32 v17, 8, v6
	v_and_or_b32 v12, 0x8000, v15, v12
	v_cndmask_b32_e64 v5, 0, 1, vcc_lo
	v_cmp_gt_i32_e32 vcc_lo, 1, v19
	v_mul_f64 v[10:11], v[10:11], s[4:5]
	v_lshl_or_b32 v20, v12, 16, v3
	v_and_or_b32 v5, 0xffe, v17, v5
	v_cndmask_b32_e32 v13, v14, v13, vcc_lo
	v_sub_nc_u32_e32 v14, 0x3f1, v18
	v_add_co_u32 v3, s1, v8, s3
	v_or_b32_e32 v17, 0x1000, v5
	v_and_b32_e32 v15, 7, v13
	v_med3_i32 v14, v14, 0, 13
	v_lshrrev_b32_e32 v8, 2, v13
	v_fma_f16 v12, v57, v21, -v4
	v_add_co_ci_u32_e64 v4, s1, s2, v9, s1
	v_cmp_lt_i32_e32 vcc_lo, 5, v15
	v_cmp_eq_u32_e64 s0, 3, v15
	v_lshrrev_b32_e32 v15, v14, v17
	v_cvt_f32_f16_e32 v12, v12
	global_store_dword v[3:4], v20, off
	s_or_b32 vcc_lo, s0, vcc_lo
	v_lshlrev_b32_e32 v13, v14, v15
	v_add_co_ci_u32_e32 v14, vcc_lo, 0, v8, vcc_lo
	ds_read2_b32 v[8:9], v2 offset0:160 offset1:212
	v_and_or_b32 v10, 0x1ff, v11, v10
	v_cmp_ne_u32_e32 vcc_lo, v13, v17
	v_cvt_f64_f32_e32 v[12:13], v12
	v_add_nc_u32_e32 v17, 0xfffffc10, v18
	v_lshrrev_b32_e32 v18, 8, v11
	v_bfe_u32 v21, v11, 20, 11
	v_cndmask_b32_e64 v2, 0, 1, vcc_lo
	v_cmp_gt_i32_e32 vcc_lo, 31, v19
	v_or_b32_e32 v2, v15, v2
	v_cndmask_b32_e32 v14, 0x7c00, v14, vcc_lo
	v_cmp_ne_u32_e32 vcc_lo, 0, v10
	v_lshl_or_b32 v15, v17, 12, v5
	v_cndmask_b32_e64 v10, 0, 1, vcc_lo
	v_cmp_ne_u32_e32 vcc_lo, 0, v16
	v_and_or_b32 v10, 0xffe, v18, v10
	v_cndmask_b32_e64 v16, 0, 1, vcc_lo
	v_cmp_gt_i32_e32 vcc_lo, 1, v17
	v_mul_f64 v[12:13], v[12:13], s[4:5]
	s_waitcnt lgkmcnt(0)
	v_lshrrev_b32_e32 v18, 16, v8
	v_or_b32_e32 v23, 0x1000, v10
	v_lshl_or_b32 v16, v16, 9, 0x7c00
	v_cndmask_b32_e32 v2, v15, v2, vcc_lo
	v_sub_nc_u32_e32 v15, 0x3f1, v21
	v_cmp_eq_u32_e32 vcc_lo, 0x40f, v19
	v_mul_f16_sdwa v24, v56, v18 dst_sel:DWORD dst_unused:UNUSED_PAD src0_sel:WORD_1 src1_sel:DWORD
	v_add_nc_u32_e32 v21, 0xfffffc10, v21
	v_and_b32_e32 v22, 7, v2
	v_med3_i32 v15, v15, 0, 13
	v_cndmask_b32_e32 v14, v14, v16, vcc_lo
	v_lshrrev_b32_e32 v2, 2, v2
	v_fmac_f16_e32 v24, v56, v8
	v_cmp_lt_i32_e32 vcc_lo, 5, v22
	v_cmp_eq_u32_e64 s0, 3, v22
	v_lshrrev_b32_e32 v16, v15, v23
	v_and_or_b32 v7, 0x8000, v7, v14
	v_cvt_f32_f16_e32 v14, v24
	v_mul_f16_sdwa v8, v56, v8 dst_sel:DWORD dst_unused:UNUSED_PAD src0_sel:WORD_1 src1_sel:DWORD
	s_or_b32 vcc_lo, s0, vcc_lo
	v_lshlrev_b32_e32 v19, v15, v16
	v_add_co_ci_u32_e32 v2, vcc_lo, 0, v2, vcc_lo
	v_cmp_ne_u32_e32 vcc_lo, 0, v5
	v_cvt_f64_f32_e32 v[14:15], v14
	v_and_or_b32 v12, 0x1ff, v13, v12
	v_lshrrev_b32_e32 v22, 8, v13
	v_and_b32_e32 v7, 0xffff, v7
	v_cndmask_b32_e64 v5, 0, 1, vcc_lo
	v_cmp_ne_u32_e32 vcc_lo, v19, v23
	v_fma_f16 v8, v56, v18, -v8
	v_lshl_or_b32 v5, v5, 9, 0x7c00
	v_cndmask_b32_e64 v19, 0, 1, vcc_lo
	v_cmp_gt_i32_e32 vcc_lo, 31, v17
	v_cvt_f32_f16_e32 v8, v8
	v_or_b32_e32 v16, v16, v19
	v_cndmask_b32_e32 v2, 0x7c00, v2, vcc_lo
	v_cmp_ne_u32_e32 vcc_lo, 0, v12
	v_lshl_or_b32 v19, v21, 12, v10
	v_cndmask_b32_e64 v12, 0, 1, vcc_lo
	v_cmp_eq_u32_e32 vcc_lo, 0x40f, v17
	v_bfe_u32 v17, v13, 20, 11
	v_lshrrev_b32_e32 v13, 16, v13
	v_and_or_b32 v12, 0xffe, v22, v12
	v_cndmask_b32_e32 v2, v2, v5, vcc_lo
	v_cmp_gt_i32_e32 vcc_lo, 1, v21
	v_sub_nc_u32_e32 v22, 0x3f1, v17
	v_cndmask_b32_e32 v16, v19, v16, vcc_lo
	v_lshrrev_b32_e32 v19, 16, v6
	v_mul_f64 v[5:6], v[14:15], s[4:5]
	v_or_b32_e32 v15, 0x1000, v12
	v_med3_i32 v22, v22, 0, 13
	v_and_b32_e32 v14, 7, v16
	v_and_or_b32 v2, 0x8000, v19, v2
	v_add_nc_u32_e32 v19, 0xfffffc10, v17
	v_lshrrev_b32_e32 v18, v22, v15
	v_cmp_lt_i32_e32 vcc_lo, 5, v14
	v_cmp_eq_u32_e64 s0, 3, v14
	v_lshl_or_b32 v2, v2, 16, v7
	v_lshrrev_b32_e32 v7, 2, v16
	v_lshlrev_b32_e32 v14, v22, v18
	s_or_b32 vcc_lo, s0, vcc_lo
	v_add_co_ci_u32_e32 v16, vcc_lo, 0, v7, vcc_lo
	v_cmp_ne_u32_e32 vcc_lo, v14, v15
	v_cvt_f64_f32_e32 v[7:8], v8
	v_lshl_or_b32 v15, v19, 12, v12
	v_and_or_b32 v5, 0x1ff, v6, v5
	v_cndmask_b32_e64 v14, 0, 1, vcc_lo
	v_cmp_ne_u32_e32 vcc_lo, 0, v10
	v_lshrrev_b32_e32 v17, 8, v6
	v_bfe_u32 v22, v6, 20, 11
	v_lshrrev_b32_e32 v6, 16, v6
	v_or_b32_e32 v14, v18, v14
	v_cndmask_b32_e64 v10, 0, 1, vcc_lo
	v_cmp_ne_u32_e32 vcc_lo, 0, v5
	v_lshl_or_b32 v10, v10, 9, 0x7c00
	v_cndmask_b32_e64 v5, 0, 1, vcc_lo
	v_cmp_gt_i32_e32 vcc_lo, 1, v19
	v_and_or_b32 v5, 0xffe, v17, v5
	v_cndmask_b32_e32 v18, v15, v14, vcc_lo
	v_cmp_gt_i32_e32 vcc_lo, 31, v21
	v_sub_nc_u32_e32 v17, 0x3f1, v22
	v_mul_f64 v[7:8], v[7:8], s[4:5]
	ds_read2_b32 v[14:15], v0 offset0:16 offset1:68
	v_and_b32_e32 v23, 7, v18
	v_cndmask_b32_e32 v16, 0x7c00, v16, vcc_lo
	v_or_b32_e32 v24, 0x1000, v5
	v_med3_i32 v17, v17, 0, 13
	v_cmp_eq_u32_e32 vcc_lo, 0x40f, v21
	v_lshrrev_b32_e32 v21, 16, v11
	v_cmp_eq_u32_e64 s0, 3, v23
	v_lshrrev_b32_e32 v18, 2, v18
	v_add_nc_u32_e32 v22, 0xfffffc10, v22
	v_cndmask_b32_e32 v16, v16, v10, vcc_lo
	v_cmp_lt_i32_e32 vcc_lo, 5, v23
	v_lshrrev_b32_e32 v23, v17, v24
	v_add_co_u32 v10, s1, v3, s7
	v_and_or_b32 v21, 0x8000, v21, v16
	s_or_b32 vcc_lo, s0, vcc_lo
	v_lshlrev_b32_e32 v16, v17, v23
	v_add_co_ci_u32_e32 v18, vcc_lo, 0, v18, vcc_lo
	s_waitcnt lgkmcnt(0)
	v_lshrrev_b32_e32 v25, 16, v14
	v_and_or_b32 v7, 0x1ff, v8, v7
	v_cmp_ne_u32_e32 vcc_lo, v16, v24
	v_lshrrev_b32_e32 v24, 8, v8
	v_bfe_u32 v26, v8, 20, 11
	v_mul_f16_sdwa v17, v55, v25 dst_sel:DWORD dst_unused:UNUSED_PAD src0_sel:WORD_1 src1_sel:DWORD
	v_add_co_ci_u32_e64 v11, s1, s6, v4, s1
	v_cndmask_b32_e64 v16, 0, 1, vcc_lo
	v_cmp_ne_u32_e32 vcc_lo, 0, v12
	v_fmac_f16_e32 v17, v55, v14
	v_mul_f16_sdwa v14, v55, v14 dst_sel:DWORD dst_unused:UNUSED_PAD src0_sel:WORD_1 src1_sel:DWORD
	global_store_dword v[10:11], v2, off
	v_or_b32_e32 v16, v23, v16
	v_cndmask_b32_e64 v12, 0, 1, vcc_lo
	v_cmp_ne_u32_e32 vcc_lo, 0, v7
	v_lshl_or_b32 v23, v22, 12, v5
	v_cvt_f32_f16_e32 v17, v17
	v_and_b32_e32 v21, 0xffff, v21
	v_lshl_or_b32 v12, v12, 9, 0x7c00
	v_cndmask_b32_e64 v7, 0, 1, vcc_lo
	v_cmp_gt_i32_e32 vcc_lo, 1, v22
	v_lshrrev_b32_e32 v8, 16, v8
	v_and_or_b32 v7, 0xffe, v24, v7
	v_cndmask_b32_e32 v23, v23, v16, vcc_lo
	v_cmp_gt_i32_e32 vcc_lo, 31, v19
	v_sub_nc_u32_e32 v24, 0x3f1, v26
	v_cvt_f64_f32_e32 v[16:17], v17
	v_or_b32_e32 v28, 0x1000, v7
	v_and_b32_e32 v27, 7, v23
	v_cndmask_b32_e32 v18, 0x7c00, v18, vcc_lo
	v_cmp_eq_u32_e32 vcc_lo, 0x40f, v19
	v_med3_i32 v24, v24, 0, 13
	v_cmp_eq_u32_e64 s0, 3, v27
	v_cndmask_b32_e32 v12, v18, v12, vcc_lo
	v_lshrrev_b32_e32 v18, v24, v28
	v_cmp_lt_i32_e32 vcc_lo, 5, v27
	v_and_or_b32 v19, 0x8000, v13, v12
	v_lshrrev_b32_e32 v12, 2, v23
	v_fma_f16 v13, v55, v25, -v14
	v_lshlrev_b32_e32 v14, v24, v18
	s_or_b32 vcc_lo, s0, vcc_lo
	v_add_nc_u32_e32 v25, 0xfffffc10, v26
	v_add_co_ci_u32_e32 v23, vcc_lo, 0, v12, vcc_lo
	v_cmp_ne_u32_e32 vcc_lo, v14, v28
	v_cvt_f32_f16_e32 v24, v13
	v_mul_f64 v[12:13], v[16:17], s[4:5]
	v_cndmask_b32_e64 v14, 0, 1, vcc_lo
	v_cmp_ne_u32_e32 vcc_lo, 0, v5
	v_cvt_f64_f32_e32 v[16:17], v24
	v_or_b32_e32 v14, v18, v14
	v_cndmask_b32_e64 v5, 0, 1, vcc_lo
	v_cmp_gt_i32_e32 vcc_lo, 31, v22
	v_lshl_or_b32 v18, v25, 12, v7
	v_lshl_or_b32 v5, v5, 9, 0x7c00
	v_cndmask_b32_e32 v23, 0x7c00, v23, vcc_lo
	v_cmp_gt_i32_e32 vcc_lo, 1, v25
	v_cndmask_b32_e32 v14, v18, v14, vcc_lo
	v_cmp_eq_u32_e32 vcc_lo, 0x40f, v22
	v_and_or_b32 v4, 0x1ff, v13, v12
	v_lshrrev_b32_e32 v12, 8, v13
	v_lshl_or_b32 v18, v19, 16, v21
	v_and_b32_e32 v3, 7, v14
	v_cndmask_b32_e32 v5, v23, v5, vcc_lo
	v_cmp_ne_u32_e64 s1, 0, v4
	v_cmp_lt_i32_e32 vcc_lo, 5, v3
	v_cmp_eq_u32_e64 s0, 3, v3
	v_mul_f64 v[2:3], v[16:17], s[4:5]
	v_and_or_b32 v6, 0x8000, v6, v5
	v_lshrrev_b32_e32 v5, 2, v14
	v_cndmask_b32_e64 v4, 0, 1, s1
	v_bfe_u32 v14, v13, 20, 11
	s_or_b32 vcc_lo, s0, vcc_lo
	v_lshrrev_b32_e32 v16, 16, v9
	v_add_co_ci_u32_e32 v5, vcc_lo, 0, v5, vcc_lo
	v_and_or_b32 v12, 0xffe, v12, v4
	v_sub_nc_u32_e32 v4, 0x3f1, v14
	v_cmp_ne_u32_e32 vcc_lo, 0, v7
	v_mul_f16_sdwa v19, v54, v16 dst_sel:DWORD dst_unused:UNUSED_PAD src0_sel:WORD_1 src1_sel:DWORD
	v_add_nc_u32_e32 v14, 0xfffffc10, v14
	v_or_b32_e32 v17, 0x1000, v12
	v_med3_i32 v4, v4, 0, 13
	v_cndmask_b32_e64 v7, 0, 1, vcc_lo
	v_cmp_gt_i32_e32 vcc_lo, 31, v25
	v_fmac_f16_e32 v19, v54, v9
	v_and_b32_e32 v23, 0xffff, v6
	v_lshrrev_b32_e32 v20, v4, v17
	v_lshl_or_b32 v7, v7, 9, 0x7c00
	v_cndmask_b32_e32 v5, 0x7c00, v5, vcc_lo
	v_and_or_b32 v2, 0x1ff, v3, v2
	v_cmp_eq_u32_e32 vcc_lo, 0x40f, v25
	v_lshlrev_b32_e32 v21, v4, v20
	v_cvt_f32_f16_e32 v4, v19
	v_lshrrev_b32_e32 v19, 8, v3
	v_bfe_u32 v22, v3, 20, 11
	v_cndmask_b32_e32 v7, v5, v7, vcc_lo
	v_cmp_ne_u32_e32 vcc_lo, 0, v2
	v_cvt_f64_f32_e32 v[4:5], v4
	v_lshrrev_b32_e32 v13, 16, v13
	v_and_or_b32 v8, 0x8000, v8, v7
	v_cndmask_b32_e64 v2, 0, 1, vcc_lo
	v_cmp_ne_u32_e32 vcc_lo, v21, v17
	v_lshl_or_b32 v23, v8, 16, v23
	v_and_or_b32 v2, 0xffe, v19, v2
	v_cndmask_b32_e64 v17, 0, 1, vcc_lo
	v_sub_nc_u32_e32 v19, 0x3f1, v22
	v_cmp_gt_i32_e32 vcc_lo, 1, v14
	v_or_b32_e32 v21, 0x1000, v2
	v_or_b32_e32 v17, v20, v17
	v_lshl_or_b32 v20, v14, 12, v12
	v_med3_i32 v19, v19, 0, 13
	v_cndmask_b32_e32 v17, v20, v17, vcc_lo
	v_lshrrev_b32_e32 v20, v19, v21
	v_add_co_u32 v6, vcc_lo, v10, s3
	v_add_co_ci_u32_e32 v7, vcc_lo, s2, v11, vcc_lo
	v_lshlrev_b32_e32 v11, v19, v20
	v_mul_f16_sdwa v19, v54, v9 dst_sel:DWORD dst_unused:UNUSED_PAD src0_sel:WORD_1 src1_sel:DWORD
	v_and_b32_e32 v10, 7, v17
	v_mul_f64 v[4:5], v[4:5], s[4:5]
	v_add_co_u32 v8, vcc_lo, v6, s7
	v_cmp_ne_u32_e64 s0, v11, v21
	v_fma_f16 v16, v54, v16, -v19
	v_add_co_ci_u32_e32 v9, vcc_lo, s6, v7, vcc_lo
	v_cmp_lt_i32_e32 vcc_lo, 5, v10
	v_cndmask_b32_e64 v11, 0, 1, s0
	v_cmp_eq_u32_e64 s0, 3, v10
	v_cvt_f32_f16_e32 v16, v16
	v_lshrrev_b32_e32 v17, 2, v17
	v_add_nc_u32_e32 v19, 0xfffffc10, v22
	v_or_b32_e32 v20, v20, v11
	s_or_b32 vcc_lo, s0, vcc_lo
	v_cvt_f64_f32_e32 v[10:11], v16
	v_add_co_ci_u32_e32 v16, vcc_lo, 0, v17, vcc_lo
	v_cmp_ne_u32_e32 vcc_lo, 0, v12
	v_lshl_or_b32 v21, v19, 12, v2
	global_store_dword v[6:7], v18, off
	global_store_dword v[8:9], v23, off
	v_and_or_b32 v4, 0x1ff, v5, v4
	v_cndmask_b32_e64 v12, 0, 1, vcc_lo
	v_cmp_gt_i32_e32 vcc_lo, 1, v19
	v_bfe_u32 v22, v5, 20, 11
	v_lshl_or_b32 v12, v12, 9, 0x7c00
	v_cndmask_b32_e32 v17, v21, v20, vcc_lo
	v_cmp_gt_i32_e32 vcc_lo, 31, v14
	v_lshrrev_b32_e32 v21, 8, v5
	v_and_b32_e32 v20, 7, v17
	v_cndmask_b32_e32 v16, 0x7c00, v16, vcc_lo
	v_cmp_ne_u32_e32 vcc_lo, 0, v4
	v_mul_f64 v[10:11], v[10:11], s[4:5]
	v_lshrrev_b32_e32 v17, 2, v17
	v_cmp_eq_u32_e64 s0, 3, v20
	v_cndmask_b32_e64 v4, 0, 1, vcc_lo
	v_cmp_eq_u32_e32 vcc_lo, 0x40f, v14
	v_sub_nc_u32_e32 v14, 0x3f1, v22
	v_and_or_b32 v4, 0xffe, v21, v4
	v_cndmask_b32_e32 v12, v16, v12, vcc_lo
	v_cmp_lt_i32_e32 vcc_lo, 5, v20
	v_med3_i32 v14, v14, 0, 13
	v_lshrrev_b32_e32 v16, 16, v15
	v_or_b32_e32 v20, 0x1000, v4
	v_and_or_b32 v12, 0x8000, v13, v12
	s_or_b32 vcc_lo, s0, vcc_lo
	v_add_co_ci_u32_e32 v17, vcc_lo, 0, v17, vcc_lo
	v_cmp_ne_u32_e32 vcc_lo, 0, v2
	v_lshrrev_b32_e32 v24, v14, v20
	v_mul_f16_sdwa v21, v53, v16 dst_sel:DWORD dst_unused:UNUSED_PAD src0_sel:WORD_1 src1_sel:DWORD
	v_and_or_b32 v10, 0x1ff, v11, v10
	v_and_b32_e32 v12, 0xffff, v12
	v_cndmask_b32_e64 v2, 0, 1, vcc_lo
	v_cmp_gt_i32_e32 vcc_lo, 31, v19
	v_lshlrev_b32_e32 v13, v14, v24
	v_fmac_f16_e32 v21, v53, v15
	v_lshl_or_b32 v2, v2, 9, 0x7c00
	v_cndmask_b32_e32 v17, 0x7c00, v17, vcc_lo
	v_cmp_eq_u32_e32 vcc_lo, 0x40f, v19
	v_cvt_f32_f16_e32 v14, v21
	v_lshrrev_b32_e32 v19, 16, v3
	v_bfe_u32 v21, v11, 20, 11
	v_cndmask_b32_e32 v17, v17, v2, vcc_lo
	v_cmp_ne_u32_e32 vcc_lo, v13, v20
	v_cvt_f64_f32_e32 v[2:3], v14
	v_add_nc_u32_e32 v14, 0xfffffc10, v22
	v_lshrrev_b32_e32 v20, 8, v11
	v_and_or_b32 v17, 0x8000, v19, v17
	v_cndmask_b32_e64 v13, 0, 1, vcc_lo
	v_cmp_ne_u32_e32 vcc_lo, 0, v10
	v_lshl_or_b32 v19, v14, 12, v4
	v_lshrrev_b32_e32 v11, 16, v11
	v_lshl_or_b32 v12, v17, 16, v12
	v_or_b32_e32 v13, v24, v13
	v_cndmask_b32_e64 v10, 0, 1, vcc_lo
	v_cmp_gt_i32_e32 vcc_lo, 1, v14
	v_and_or_b32 v10, 0xffe, v20, v10
	v_sub_nc_u32_e32 v20, 0x3f1, v21
	v_cndmask_b32_e32 v13, v19, v13, vcc_lo
	v_add_co_u32 v6, vcc_lo, v8, s3
	v_or_b32_e32 v19, 0x1000, v10
	v_med3_i32 v20, v20, 0, 13
	v_and_b32_e32 v17, 7, v13
	v_mul_f64 v[2:3], v[2:3], s[4:5]
	v_add_co_ci_u32_e32 v7, vcc_lo, s2, v9, vcc_lo
	v_lshrrev_b32_e32 v18, v20, v19
	v_cmp_lt_i32_e32 vcc_lo, 5, v17
	v_cmp_eq_u32_e64 s0, 3, v17
	v_mul_f16_sdwa v9, v53, v15 dst_sel:DWORD dst_unused:UNUSED_PAD src0_sel:WORD_1 src1_sel:DWORD
	v_lshrrev_b32_e32 v13, 2, v13
	v_lshlrev_b32_e32 v8, v20, v18
	v_add_nc_u32_e32 v15, 0xfffffc10, v21
	s_or_b32 vcc_lo, s0, vcc_lo
	v_fma_f16 v9, v53, v16, -v9
	v_add_co_ci_u32_e32 v13, vcc_lo, 0, v13, vcc_lo
	v_cmp_ne_u32_e64 s1, v8, v19
	v_cmp_ne_u32_e32 vcc_lo, 0, v4
	v_cvt_f32_f16_e32 v9, v9
	v_lshl_or_b32 v17, v15, 12, v10
	global_store_dword v[6:7], v12, off
	v_cndmask_b32_e64 v8, 0, 1, s1
	v_cndmask_b32_e64 v4, 0, 1, vcc_lo
	v_cmp_gt_i32_e32 vcc_lo, 1, v15
	v_bfe_u32 v20, v3, 20, 11
	v_lshrrev_b32_e32 v19, 8, v3
	v_or_b32_e32 v16, v18, v8
	v_cvt_f64_f32_e32 v[8:9], v9
	v_lshl_or_b32 v4, v4, 9, 0x7c00
	v_cndmask_b32_e32 v16, v17, v16, vcc_lo
	v_and_or_b32 v17, 0x1ff, v3, v2
	v_cmp_gt_i32_e32 vcc_lo, 31, v14
	ds_read2_b32 v[1:2], v1 offset0:8 offset1:60
	v_and_b32_e32 v18, 7, v16
	v_lshrrev_b32_e32 v16, 2, v16
	v_cndmask_b32_e32 v13, 0x7c00, v13, vcc_lo
	v_cmp_ne_u32_e32 vcc_lo, 0, v17
	v_cmp_eq_u32_e64 s0, 3, v18
	v_cndmask_b32_e64 v17, 0, 1, vcc_lo
	v_cmp_eq_u32_e32 vcc_lo, 0x40f, v14
	v_lshrrev_b32_e32 v14, 16, v5
	v_and_or_b32 v17, 0xffe, v19, v17
	v_cndmask_b32_e32 v13, v13, v4, vcc_lo
	v_sub_nc_u32_e32 v4, 0x3f1, v20
	v_cmp_lt_i32_e32 vcc_lo, 5, v18
	v_or_b32_e32 v18, 0x1000, v17
	s_waitcnt lgkmcnt(0)
	v_lshrrev_b32_e32 v21, 16, v1
	v_med3_i32 v19, v4, 0, 13
	v_mul_f64 v[4:5], v[8:9], s[4:5]
	s_or_b32 vcc_lo, s0, vcc_lo
	v_and_or_b32 v13, 0x8000, v14, v13
	v_add_co_ci_u32_e32 v8, vcc_lo, 0, v16, vcc_lo
	v_cmp_ne_u32_e32 vcc_lo, 0, v10
	v_lshrrev_b32_e32 v10, v19, v18
	v_mul_f16_sdwa v16, v52, v21 dst_sel:DWORD dst_unused:UNUSED_PAD src0_sel:WORD_1 src1_sel:DWORD
	v_and_b32_e32 v13, 0xffff, v13
	v_cndmask_b32_e64 v9, 0, 1, vcc_lo
	v_cmp_gt_i32_e32 vcc_lo, 31, v15
	v_lshlrev_b32_e32 v14, v19, v10
	v_fmac_f16_e32 v16, v52, v1
	v_mul_f16_sdwa v1, v52, v1 dst_sel:DWORD dst_unused:UNUSED_PAD src0_sel:WORD_1 src1_sel:DWORD
	v_lshl_or_b32 v9, v9, 9, 0x7c00
	v_cndmask_b32_e32 v8, 0x7c00, v8, vcc_lo
	v_cmp_eq_u32_e32 vcc_lo, 0x40f, v15
	v_fma_f16 v1, v52, v21, -v1
	v_cndmask_b32_e32 v15, v8, v9, vcc_lo
	v_cmp_ne_u32_e32 vcc_lo, v14, v18
	v_and_or_b32 v4, 0x1ff, v5, v4
	v_cvt_f32_f16_e32 v8, v16
	v_add_nc_u32_e32 v16, 0xfffffc10, v20
	v_and_or_b32 v11, 0x8000, v11, v15
	v_cndmask_b32_e64 v14, 0, 1, vcc_lo
	v_cmp_ne_u32_e32 vcc_lo, 0, v4
	v_cvt_f64_f32_e32 v[8:9], v8
	v_lshrrev_b32_e32 v15, 8, v5
	v_bfe_u32 v18, v5, 20, 11
	v_or_b32_e32 v10, v10, v14
	v_lshl_or_b32 v14, v16, 12, v17
	v_cndmask_b32_e64 v4, 0, 1, vcc_lo
	v_cmp_gt_i32_e32 vcc_lo, 1, v16
	v_lshl_or_b32 v11, v11, 16, v13
	v_lshrrev_b32_e32 v5, 16, v5
	v_cndmask_b32_e32 v10, v14, v10, vcc_lo
	v_and_or_b32 v14, 0xffe, v15, v4
	v_sub_nc_u32_e32 v4, 0x3f1, v18
	v_add_co_u32 v6, vcc_lo, v6, s7
	v_and_b32_e32 v12, 7, v10
	v_or_b32_e32 v13, 0x1000, v14
	v_med3_i32 v4, v4, 0, 13
	v_add_co_ci_u32_e32 v7, vcc_lo, s6, v7, vcc_lo
	v_cmp_lt_i32_e32 vcc_lo, 5, v12
	v_cmp_eq_u32_e64 s0, 3, v12
	v_lshrrev_b32_e32 v15, v4, v13
	v_mul_f64 v[8:9], v[8:9], s[4:5]
	v_lshrrev_b32_e32 v10, 2, v10
	global_store_dword v[6:7], v11, off
	s_or_b32 vcc_lo, s0, vcc_lo
	v_lshlrev_b32_e32 v4, v4, v15
	v_add_co_ci_u32_e32 v12, vcc_lo, 0, v10, vcc_lo
	v_cvt_f32_f16_e32 v10, v1
	v_cmp_ne_u32_e32 vcc_lo, v4, v13
	v_add_nc_u32_e32 v13, 0xfffffc10, v18
	ds_read2_b32 v[0:1], v0 offset0:120 offset1:172
	v_cvt_f64_f32_e32 v[10:11], v10
	v_cndmask_b32_e64 v4, 0, 1, vcc_lo
	v_cmp_ne_u32_e32 vcc_lo, 0, v17
	v_or_b32_e32 v4, v15, v4
	v_cndmask_b32_e64 v17, 0, 1, vcc_lo
	v_cmp_gt_i32_e32 vcc_lo, 31, v16
	v_lshl_or_b32 v15, v13, 12, v14
	v_and_or_b32 v8, 0x1ff, v9, v8
	v_bfe_u32 v18, v9, 20, 11
	v_lshl_or_b32 v17, v17, 9, 0x7c00
	v_cndmask_b32_e32 v12, 0x7c00, v12, vcc_lo
	v_cmp_gt_i32_e32 vcc_lo, 1, v13
	v_sub_nc_u32_e32 v19, 0x3f1, v18
	v_add_nc_u32_e32 v18, 0xfffffc10, v18
	s_waitcnt lgkmcnt(0)
	v_lshrrev_b32_e32 v20, 16, v0
	v_cndmask_b32_e32 v15, v15, v4, vcc_lo
	v_cmp_ne_u32_e32 vcc_lo, 0, v8
	v_lshrrev_b32_e32 v8, 8, v9
	v_lshrrev_b32_e32 v9, 16, v9
	v_cndmask_b32_e64 v4, 0, 1, vcc_lo
	v_cmp_eq_u32_e32 vcc_lo, 0x40f, v16
	v_and_b32_e32 v16, 7, v15
	v_cndmask_b32_e32 v12, v12, v17, vcc_lo
	v_and_or_b32 v17, 0xffe, v8, v4
	v_lshrrev_b32_e32 v8, 16, v3
	v_cmp_lt_i32_e32 vcc_lo, 5, v16
	v_cmp_eq_u32_e64 s0, 3, v16
	v_mul_f64 v[3:4], v[10:11], s[4:5]
	v_or_b32_e32 v21, 0x1000, v17
	v_and_or_b32 v8, 0x8000, v8, v12
	v_lshrrev_b32_e32 v12, 2, v15
	v_med3_i32 v10, v19, 0, 13
	v_mul_f16_sdwa v11, v51, v20 dst_sel:DWORD dst_unused:UNUSED_PAD src0_sel:WORD_1 src1_sel:DWORD
	s_or_b32 vcc_lo, s0, vcc_lo
	v_and_b32_e32 v8, 0xffff, v8
	v_add_co_ci_u32_e32 v12, vcc_lo, 0, v12, vcc_lo
	v_lshrrev_b32_e32 v15, v10, v21
	v_cmp_ne_u32_e32 vcc_lo, 0, v14
	v_fmac_f16_e32 v11, v51, v0
	v_mul_f16_sdwa v0, v51, v0 dst_sel:DWORD dst_unused:UNUSED_PAD src0_sel:WORD_1 src1_sel:DWORD
	v_lshlrev_b32_e32 v16, v10, v15
	v_cndmask_b32_e64 v14, 0, 1, vcc_lo
	v_cmp_gt_i32_e32 vcc_lo, 31, v13
	v_cvt_f32_f16_e32 v11, v11
	v_fma_f16 v0, v51, v20, -v0
	v_lshl_or_b32 v14, v14, 9, 0x7c00
	v_cndmask_b32_e32 v12, 0x7c00, v12, vcc_lo
	v_cmp_ne_u32_e32 vcc_lo, v16, v21
	v_cvt_f64_f32_e32 v[10:11], v11
	v_and_or_b32 v3, 0x1ff, v4, v3
	v_cvt_f32_f16_e32 v0, v0
	v_cndmask_b32_e64 v16, 0, 1, vcc_lo
	v_cmp_eq_u32_e32 vcc_lo, 0x40f, v13
	v_or_b32_e32 v13, v15, v16
	v_cndmask_b32_e32 v12, v12, v14, vcc_lo
	v_cmp_ne_u32_e32 vcc_lo, 0, v3
	v_lshl_or_b32 v14, v18, 12, v17
	v_lshrrev_b32_e32 v15, 8, v4
	v_bfe_u32 v16, v4, 20, 11
	v_and_or_b32 v5, 0x8000, v5, v12
	v_cndmask_b32_e64 v3, 0, 1, vcc_lo
	v_cmp_gt_i32_e32 vcc_lo, 1, v18
	v_sub_nc_u32_e32 v12, 0x3f1, v16
	v_lshl_or_b32 v19, v5, 16, v8
	v_and_or_b32 v3, 0xffe, v15, v3
	v_cndmask_b32_e32 v13, v14, v13, vcc_lo
	v_mul_f64 v[10:11], v[10:11], s[4:5]
	v_med3_i32 v12, v12, 0, 13
	v_add_co_u32 v5, s1, v6, s3
	v_and_b32_e32 v14, 7, v13
	v_or_b32_e32 v15, 0x1000, v3
	v_add_co_ci_u32_e64 v6, s1, s2, v7, s1
	v_lshrrev_b32_e32 v7, 2, v13
	v_cmp_lt_i32_e32 vcc_lo, 5, v14
	v_cmp_eq_u32_e64 s0, 3, v14
	v_lshrrev_b32_e32 v14, v12, v15
	s_or_b32 vcc_lo, s0, vcc_lo
	v_lshlrev_b32_e32 v8, v12, v14
	v_add_co_ci_u32_e32 v12, vcc_lo, 0, v7, vcc_lo
	v_cmp_ne_u32_e32 vcc_lo, v8, v15
	v_and_or_b32 v10, 0x1ff, v11, v10
	v_cvt_f64_f32_e32 v[7:8], v0
	v_add_nc_u32_e32 v0, 0xfffffc10, v16
	v_lshrrev_b32_e32 v15, 8, v11
	v_cndmask_b32_e64 v13, 0, 1, vcc_lo
	v_cmp_gt_i32_e32 vcc_lo, 31, v18
	v_bfe_u32 v16, v11, 20, 11
	v_lshrrev_b32_e32 v11, 16, v11
	v_or_b32_e32 v13, v14, v13
	v_cndmask_b32_e32 v12, 0x7c00, v12, vcc_lo
	v_cmp_ne_u32_e32 vcc_lo, 0, v10
	v_lshl_or_b32 v14, v0, 12, v3
	v_cndmask_b32_e64 v10, 0, 1, vcc_lo
	v_cmp_ne_u32_e32 vcc_lo, 0, v17
	v_cndmask_b32_e64 v17, 0, 1, vcc_lo
	v_cmp_gt_i32_e32 vcc_lo, 1, v0
	v_mul_f64 v[7:8], v[7:8], s[4:5]
	v_cndmask_b32_e32 v13, v14, v13, vcc_lo
	v_and_or_b32 v14, 0xffe, v15, v10
	v_sub_nc_u32_e32 v10, 0x3f1, v16
	v_lshl_or_b32 v15, v17, 9, 0x7c00
	v_cmp_eq_u32_e32 vcc_lo, 0x40f, v18
	v_and_b32_e32 v20, 7, v13
	v_or_b32_e32 v21, 0x1000, v14
	v_med3_i32 v10, v10, 0, 13
	v_lshrrev_b32_e32 v17, 16, v2
	v_cndmask_b32_e32 v12, v12, v15, vcc_lo
	v_cmp_lt_i32_e32 vcc_lo, 5, v20
	v_cmp_eq_u32_e64 s0, 3, v20
	v_lshrrev_b32_e32 v15, v10, v21
	v_mul_f16_sdwa v22, v50, v17 dst_sel:DWORD dst_unused:UNUSED_PAD src0_sel:WORD_1 src1_sel:DWORD
	v_and_or_b32 v12, 0x8000, v9, v12
	v_lshrrev_b32_e32 v9, 2, v13
	s_or_b32 vcc_lo, s0, vcc_lo
	v_lshlrev_b32_e32 v10, v10, v15
	v_fmac_f16_e32 v22, v50, v2
	v_add_nc_u32_e32 v16, 0xfffffc10, v16
	v_add_co_ci_u32_e32 v18, vcc_lo, 0, v9, vcc_lo
	v_cmp_ne_u32_e32 vcc_lo, v10, v21
	v_cvt_f32_f16_e32 v13, v22
	v_and_or_b32 v7, 0x1ff, v8, v7
	v_and_b32_e32 v12, 0xffff, v12
	v_mul_f16_sdwa v2, v50, v2 dst_sel:DWORD dst_unused:UNUSED_PAD src0_sel:WORD_1 src1_sel:DWORD
	v_cndmask_b32_e64 v20, 0, 1, vcc_lo
	v_cmp_ne_u32_e32 vcc_lo, 0, v3
	v_cvt_f64_f32_e32 v[9:10], v13
	v_fma_f16 v2, v50, v17, -v2
	v_or_b32_e32 v13, v15, v20
	v_cndmask_b32_e64 v3, 0, 1, vcc_lo
	v_cmp_gt_i32_e32 vcc_lo, 31, v0
	v_lshl_or_b32 v15, v16, 12, v14
	v_bfe_u32 v20, v8, 20, 11
	v_cvt_f32_f16_e32 v2, v2
	v_lshl_or_b32 v3, v3, 9, 0x7c00
	v_cndmask_b32_e32 v18, 0x7c00, v18, vcc_lo
	v_cmp_gt_i32_e32 vcc_lo, 1, v16
	v_cndmask_b32_e32 v13, v15, v13, vcc_lo
	v_cmp_ne_u32_e32 vcc_lo, 0, v7
	v_lshrrev_b32_e32 v15, 8, v8
	v_and_b32_e32 v21, 7, v13
	v_cndmask_b32_e64 v7, 0, 1, vcc_lo
	v_cmp_eq_u32_e32 vcc_lo, 0x40f, v0
	v_lshrrev_b32_e32 v13, 2, v13
	v_cmp_eq_u32_e64 s0, 3, v21
	v_and_or_b32 v7, 0xffe, v15, v7
	v_sub_nc_u32_e32 v15, 0x3f1, v20
	v_cndmask_b32_e32 v0, v18, v3, vcc_lo
	v_cmp_lt_i32_e32 vcc_lo, 5, v21
	v_lshrrev_b32_e32 v18, 16, v4
	v_mul_f64 v[3:4], v[9:10], s[4:5]
	v_or_b32_e32 v9, 0x1000, v7
	v_med3_i32 v10, v15, 0, 13
	s_or_b32 vcc_lo, s0, vcc_lo
	v_and_or_b32 v0, 0x8000, v18, v0
	v_add_co_ci_u32_e32 v13, vcc_lo, 0, v13, vcc_lo
	v_lshrrev_b32_e32 v15, v10, v9
	v_cmp_ne_u32_e32 vcc_lo, 0, v14
	v_lshl_or_b32 v18, v0, 16, v12
	v_lshlrev_b32_e32 v0, v10, v15
	v_cndmask_b32_e64 v14, 0, 1, vcc_lo
	v_cmp_gt_i32_e32 vcc_lo, 31, v16
	v_lshl_or_b32 v12, v14, 9, 0x7c00
	v_cndmask_b32_e32 v10, 0x7c00, v13, vcc_lo
	v_cmp_ne_u32_e32 vcc_lo, v0, v9
	v_add_nc_u32_e32 v13, 0xfffffc10, v20
	v_and_or_b32 v3, 0x1ff, v4, v3
	v_lshrrev_b32_e32 v14, 8, v4
	v_cndmask_b32_e64 v0, 0, 1, vcc_lo
	v_cmp_eq_u32_e32 vcc_lo, 0x40f, v16
	v_lshl_or_b32 v9, v13, 12, v7
	v_lshrrev_b32_e32 v16, 16, v1
	v_or_b32_e32 v0, v15, v0
	v_cndmask_b32_e32 v12, v10, v12, vcc_lo
	v_cmp_ne_u32_e32 vcc_lo, 0, v3
	v_bfe_u32 v15, v4, 20, 11
	v_cvt_f64_f32_e32 v[2:3], v2
	v_mul_f16_sdwa v22, v49, v16 dst_sel:DWORD dst_unused:UNUSED_PAD src0_sel:WORD_1 src1_sel:DWORD
	v_and_or_b32 v23, 0x8000, v11, v12
	v_cndmask_b32_e64 v10, 0, 1, vcc_lo
	v_cmp_gt_i32_e32 vcc_lo, 1, v13
	v_lshrrev_b32_e32 v4, 16, v4
	v_fmac_f16_e32 v22, v49, v1
	v_mul_f16_sdwa v1, v49, v1 dst_sel:DWORD dst_unused:UNUSED_PAD src0_sel:WORD_1 src1_sel:DWORD
	v_and_or_b32 v14, 0xffe, v14, v10
	v_cndmask_b32_e32 v0, v9, v0, vcc_lo
	v_sub_nc_u32_e32 v9, 0x3f1, v15
	v_cvt_f32_f16_e32 v11, v22
	v_add_nc_u32_e32 v15, 0xfffffc10, v15
	v_or_b32_e32 v20, 0x1000, v14
	v_and_b32_e32 v17, 7, v0
	v_med3_i32 v21, v9, 0, 13
	v_add_co_u32 v9, vcc_lo, v5, s7
	v_add_co_ci_u32_e32 v10, vcc_lo, s6, v6, vcc_lo
	v_lshrrev_b32_e32 v24, v21, v20
	v_cmp_lt_i32_e32 vcc_lo, 5, v17
	v_cmp_eq_u32_e64 s0, 3, v17
	v_lshrrev_b32_e32 v0, 2, v0
	v_mul_f64 v[2:3], v[2:3], s[4:5]
	v_lshlrev_b32_e32 v17, v21, v24
	v_cvt_f64_f32_e32 v[11:12], v11
	s_or_b32 vcc_lo, s0, vcc_lo
	v_fma_f16 v1, v49, v16, -v1
	v_add_co_ci_u32_e32 v0, vcc_lo, 0, v0, vcc_lo
	v_cmp_ne_u32_e32 vcc_lo, v17, v20
	v_lshl_or_b32 v20, v15, 12, v14
	v_cvt_f32_f16_e32 v1, v1
	v_cndmask_b32_e64 v17, 0, 1, vcc_lo
	v_cmp_ne_u32_e32 vcc_lo, 0, v7
	v_or_b32_e32 v17, v24, v17
	v_cndmask_b32_e64 v7, 0, 1, vcc_lo
	v_cmp_gt_i32_e32 vcc_lo, 31, v13
	v_and_or_b32 v2, 0x1ff, v3, v2
	v_lshl_or_b32 v7, v7, 9, 0x7c00
	v_cndmask_b32_e32 v0, 0x7c00, v0, vcc_lo
	v_cmp_gt_i32_e32 vcc_lo, 1, v15
	v_cndmask_b32_e32 v16, v20, v17, vcc_lo
	v_cmp_eq_u32_e32 vcc_lo, 0x40f, v13
	v_lshrrev_b32_e32 v17, 16, v8
	v_and_b32_e32 v20, 7, v16
	v_cndmask_b32_e32 v13, v0, v7, vcc_lo
	v_mul_f64 v[7:8], v[11:12], s[4:5]
	v_cvt_f64_f32_e32 v[0:1], v1
	v_cmp_ne_u32_e32 vcc_lo, 0, v2
	v_lshrrev_b32_e32 v11, 8, v3
	v_bfe_u32 v12, v3, 20, 11
	v_cmp_eq_u32_e64 s0, 3, v20
	v_lshrrev_b32_e32 v16, 2, v16
	v_cndmask_b32_e64 v2, 0, 1, vcc_lo
	v_cmp_lt_i32_e32 vcc_lo, 5, v20
	v_and_or_b32 v13, 0x8000, v17, v13
	v_and_b32_e32 v17, 0xffff, v23
	v_lshrrev_b32_e32 v3, 16, v3
	v_and_or_b32 v2, 0xffe, v11, v2
	v_sub_nc_u32_e32 v11, 0x3f1, v12
	s_or_b32 vcc_lo, s0, vcc_lo
	v_lshl_or_b32 v13, v13, 16, v17
	v_add_co_ci_u32_e32 v16, vcc_lo, 0, v16, vcc_lo
	v_or_b32_e32 v17, 0x1000, v2
	v_med3_i32 v11, v11, 0, 13
	v_cmp_ne_u32_e32 vcc_lo, 0, v14
	v_add_nc_u32_e32 v12, 0xfffffc10, v12
	v_and_or_b32 v7, 0x1ff, v8, v7
	v_mul_f64 v[0:1], v[0:1], s[4:5]
	v_lshrrev_b32_e32 v20, v11, v17
	v_cndmask_b32_e64 v14, 0, 1, vcc_lo
	v_cmp_gt_i32_e32 vcc_lo, 31, v15
	v_lshrrev_b32_e32 v21, 8, v8
	v_bfe_u32 v22, v8, 20, 11
	v_lshlrev_b32_e32 v11, v11, v20
	v_lshl_or_b32 v14, v14, 9, 0x7c00
	v_cndmask_b32_e32 v16, 0x7c00, v16, vcc_lo
	v_cmp_ne_u32_e32 vcc_lo, 0, v7
	v_lshrrev_b32_e32 v8, 16, v8
	v_cndmask_b32_e64 v7, 0, 1, vcc_lo
	v_cmp_ne_u32_e32 vcc_lo, v11, v17
	v_sub_nc_u32_e32 v17, 0x3f1, v22
	v_and_or_b32 v7, 0xffe, v21, v7
	v_cndmask_b32_e64 v11, 0, 1, vcc_lo
	v_cmp_eq_u32_e32 vcc_lo, 0x40f, v15
	v_lshl_or_b32 v15, v12, 12, v2
	v_med3_i32 v17, v17, 0, 13
	v_and_or_b32 v0, 0x1ff, v1, v0
	v_or_b32_e32 v11, v20, v11
	v_cndmask_b32_e32 v14, v16, v14, vcc_lo
	v_or_b32_e32 v16, 0x1000, v7
	v_cmp_gt_i32_e32 vcc_lo, 1, v12
	v_lshrrev_b32_e32 v20, 8, v1
	v_bfe_u32 v21, v1, 20, 11
	v_and_or_b32 v4, 0x8000, v4, v14
	v_cndmask_b32_e32 v11, v15, v11, vcc_lo
	v_lshrrev_b32_e32 v15, v17, v16
	v_cmp_ne_u32_e32 vcc_lo, 0, v0
	v_sub_nc_u32_e32 v14, 0x3f1, v21
	v_and_b32_e32 v23, 7, v11
	v_lshlrev_b32_e32 v17, v17, v15
	v_cndmask_b32_e64 v0, 0, 1, vcc_lo
	v_lshrrev_b32_e32 v11, 2, v11
	v_med3_i32 v14, v14, 0, 13
	v_cmp_lt_i32_e32 vcc_lo, 5, v23
	v_cmp_ne_u32_e64 s0, v17, v16
	v_and_or_b32 v0, 0xffe, v20, v0
	v_add_nc_u32_e32 v20, 0xfffffc10, v22
	v_cndmask_b32_e64 v16, 0, 1, s0
	v_cmp_eq_u32_e64 s0, 3, v23
	v_or_b32_e32 v17, 0x1000, v0
	v_lshl_or_b32 v22, v20, 12, v7
	v_or_b32_e32 v15, v15, v16
	s_or_b32 vcc_lo, s0, vcc_lo
	v_lshrrev_b32_e32 v16, v14, v17
	v_add_co_ci_u32_e32 v11, vcc_lo, 0, v11, vcc_lo
	v_cmp_gt_i32_e32 vcc_lo, 1, v20
	v_lshlrev_b32_e32 v14, v14, v16
	v_cndmask_b32_e32 v15, v22, v15, vcc_lo
	v_cmp_ne_u32_e32 vcc_lo, 0, v2
	v_cndmask_b32_e64 v2, 0, 1, vcc_lo
	v_cmp_ne_u32_e32 vcc_lo, v14, v17
	v_add_nc_u32_e32 v17, 0xfffffc10, v21
	v_and_b32_e32 v21, 7, v15
	v_lshl_or_b32 v2, v2, 9, 0x7c00
	v_cndmask_b32_e64 v14, 0, 1, vcc_lo
	v_cmp_gt_i32_e32 vcc_lo, 31, v12
	v_cmp_gt_i32_e64 s1, 1, v17
	v_cmp_eq_u32_e64 s0, 3, v21
	v_or_b32_e32 v14, v16, v14
	v_lshl_or_b32 v16, v17, 12, v0
	v_cndmask_b32_e32 v11, 0x7c00, v11, vcc_lo
	v_cmp_lt_i32_e32 vcc_lo, 5, v21
	v_cndmask_b32_e64 v14, v16, v14, s1
	v_cmp_eq_u32_e64 s1, 0x40f, v12
	s_or_b32 vcc_lo, s0, vcc_lo
	v_and_b32_e32 v12, 7, v14
	v_cndmask_b32_e64 v2, v11, v2, s1
	v_lshrrev_b32_e32 v11, 2, v15
	v_cmp_gt_i32_e64 s1, 31, v20
	v_cmp_eq_u32_e64 s0, 3, v12
	v_and_or_b32 v2, 0x8000, v3, v2
	v_add_co_ci_u32_e32 v11, vcc_lo, 0, v11, vcc_lo
	v_cmp_ne_u32_e32 vcc_lo, 0, v7
	v_and_b32_e32 v3, 0xffff, v4
	v_cndmask_b32_e64 v11, 0x7c00, v11, s1
	v_cndmask_b32_e64 v7, 0, 1, vcc_lo
	v_cmp_lt_i32_e32 vcc_lo, 5, v12
	v_lshrrev_b32_e32 v12, 2, v14
	v_lshl_or_b32 v7, v7, 9, 0x7c00
	s_or_b32 vcc_lo, s0, vcc_lo
	v_add_co_ci_u32_e32 v12, vcc_lo, 0, v12, vcc_lo
	v_cmp_ne_u32_e32 vcc_lo, 0, v0
	v_cndmask_b32_e64 v0, 0, 1, vcc_lo
	v_cmp_eq_u32_e32 vcc_lo, 0x40f, v20
	v_lshl_or_b32 v0, v0, 9, 0x7c00
	v_cndmask_b32_e32 v7, v11, v7, vcc_lo
	v_cmp_gt_i32_e32 vcc_lo, 31, v17
	v_and_or_b32 v4, 0x8000, v8, v7
	v_cndmask_b32_e32 v11, 0x7c00, v12, vcc_lo
	v_cmp_eq_u32_e32 vcc_lo, 0x40f, v17
	v_lshrrev_b32_e32 v8, 16, v1
	v_and_b32_e32 v4, 0xffff, v4
	v_cndmask_b32_e32 v7, v11, v0, vcc_lo
	v_add_co_u32 v0, vcc_lo, v9, s3
	v_add_co_ci_u32_e32 v1, vcc_lo, s2, v10, vcc_lo
	v_lshl_or_b32 v11, v2, 16, v3
	v_and_or_b32 v7, 0x8000, v8, v7
	v_add_co_u32 v2, vcc_lo, v0, s7
	v_add_co_ci_u32_e32 v3, vcc_lo, s6, v1, vcc_lo
	v_lshl_or_b32 v4, v7, 16, v4
	v_add_co_u32 v7, vcc_lo, v2, s3
	v_add_co_ci_u32_e32 v8, vcc_lo, s2, v3, vcc_lo
	global_store_dword v[5:6], v19, off
	global_store_dword v[9:10], v18, off
	;; [unrolled: 1-line block ×5, first 2 shown]
.LBB0_10:
	s_endpgm
	.section	.rodata,"a",@progbits
	.p2align	6, 0x0
	.amdhsa_kernel bluestein_single_back_len1248_dim1_half_op_CI_CI
		.amdhsa_group_segment_fixed_size 4992
		.amdhsa_private_segment_fixed_size 0
		.amdhsa_kernarg_size 104
		.amdhsa_user_sgpr_count 6
		.amdhsa_user_sgpr_private_segment_buffer 1
		.amdhsa_user_sgpr_dispatch_ptr 0
		.amdhsa_user_sgpr_queue_ptr 0
		.amdhsa_user_sgpr_kernarg_segment_ptr 1
		.amdhsa_user_sgpr_dispatch_id 0
		.amdhsa_user_sgpr_flat_scratch_init 0
		.amdhsa_user_sgpr_private_segment_size 0
		.amdhsa_wavefront_size32 1
		.amdhsa_uses_dynamic_stack 0
		.amdhsa_system_sgpr_private_segment_wavefront_offset 0
		.amdhsa_system_sgpr_workgroup_id_x 1
		.amdhsa_system_sgpr_workgroup_id_y 0
		.amdhsa_system_sgpr_workgroup_id_z 0
		.amdhsa_system_sgpr_workgroup_info 0
		.amdhsa_system_vgpr_workitem_id 0
		.amdhsa_next_free_vgpr 229
		.amdhsa_next_free_sgpr 20
		.amdhsa_reserve_vcc 1
		.amdhsa_reserve_flat_scratch 0
		.amdhsa_float_round_mode_32 0
		.amdhsa_float_round_mode_16_64 0
		.amdhsa_float_denorm_mode_32 3
		.amdhsa_float_denorm_mode_16_64 3
		.amdhsa_dx10_clamp 1
		.amdhsa_ieee_mode 1
		.amdhsa_fp16_overflow 0
		.amdhsa_workgroup_processor_mode 1
		.amdhsa_memory_ordered 1
		.amdhsa_forward_progress 0
		.amdhsa_shared_vgpr_count 0
		.amdhsa_exception_fp_ieee_invalid_op 0
		.amdhsa_exception_fp_denorm_src 0
		.amdhsa_exception_fp_ieee_div_zero 0
		.amdhsa_exception_fp_ieee_overflow 0
		.amdhsa_exception_fp_ieee_underflow 0
		.amdhsa_exception_fp_ieee_inexact 0
		.amdhsa_exception_int_div_zero 0
	.end_amdhsa_kernel
	.text
.Lfunc_end0:
	.size	bluestein_single_back_len1248_dim1_half_op_CI_CI, .Lfunc_end0-bluestein_single_back_len1248_dim1_half_op_CI_CI
                                        ; -- End function
	.section	.AMDGPU.csdata,"",@progbits
; Kernel info:
; codeLenInByte = 45640
; NumSgprs: 22
; NumVgprs: 229
; ScratchSize: 0
; MemoryBound: 0
; FloatMode: 240
; IeeeMode: 1
; LDSByteSize: 4992 bytes/workgroup (compile time only)
; SGPRBlocks: 2
; VGPRBlocks: 28
; NumSGPRsForWavesPerEU: 22
; NumVGPRsForWavesPerEU: 229
; Occupancy: 4
; WaveLimiterHint : 1
; COMPUTE_PGM_RSRC2:SCRATCH_EN: 0
; COMPUTE_PGM_RSRC2:USER_SGPR: 6
; COMPUTE_PGM_RSRC2:TRAP_HANDLER: 0
; COMPUTE_PGM_RSRC2:TGID_X_EN: 1
; COMPUTE_PGM_RSRC2:TGID_Y_EN: 0
; COMPUTE_PGM_RSRC2:TGID_Z_EN: 0
; COMPUTE_PGM_RSRC2:TIDIG_COMP_CNT: 0
	.text
	.p2alignl 6, 3214868480
	.fill 48, 4, 3214868480
	.type	__hip_cuid_4b3af95ffb339ee9,@object ; @__hip_cuid_4b3af95ffb339ee9
	.section	.bss,"aw",@nobits
	.globl	__hip_cuid_4b3af95ffb339ee9
__hip_cuid_4b3af95ffb339ee9:
	.byte	0                               ; 0x0
	.size	__hip_cuid_4b3af95ffb339ee9, 1

	.ident	"AMD clang version 19.0.0git (https://github.com/RadeonOpenCompute/llvm-project roc-6.4.0 25133 c7fe45cf4b819c5991fe208aaa96edf142730f1d)"
	.section	".note.GNU-stack","",@progbits
	.addrsig
	.addrsig_sym __hip_cuid_4b3af95ffb339ee9
	.amdgpu_metadata
---
amdhsa.kernels:
  - .args:
      - .actual_access:  read_only
        .address_space:  global
        .offset:         0
        .size:           8
        .value_kind:     global_buffer
      - .actual_access:  read_only
        .address_space:  global
        .offset:         8
        .size:           8
        .value_kind:     global_buffer
      - .actual_access:  read_only
        .address_space:  global
        .offset:         16
        .size:           8
        .value_kind:     global_buffer
      - .actual_access:  read_only
        .address_space:  global
        .offset:         24
        .size:           8
        .value_kind:     global_buffer
      - .actual_access:  read_only
        .address_space:  global
        .offset:         32
        .size:           8
        .value_kind:     global_buffer
      - .offset:         40
        .size:           8
        .value_kind:     by_value
      - .address_space:  global
        .offset:         48
        .size:           8
        .value_kind:     global_buffer
      - .address_space:  global
        .offset:         56
        .size:           8
        .value_kind:     global_buffer
      - .address_space:  global
        .offset:         64
        .size:           8
        .value_kind:     global_buffer
      - .address_space:  global
        .offset:         72
        .size:           8
        .value_kind:     global_buffer
      - .offset:         80
        .size:           4
        .value_kind:     by_value
      - .address_space:  global
        .offset:         88
        .size:           8
        .value_kind:     global_buffer
      - .address_space:  global
        .offset:         96
        .size:           8
        .value_kind:     global_buffer
    .group_segment_fixed_size: 4992
    .kernarg_segment_align: 8
    .kernarg_segment_size: 104
    .language:       OpenCL C
    .language_version:
      - 2
      - 0
    .max_flat_workgroup_size: 52
    .name:           bluestein_single_back_len1248_dim1_half_op_CI_CI
    .private_segment_fixed_size: 0
    .sgpr_count:     22
    .sgpr_spill_count: 0
    .symbol:         bluestein_single_back_len1248_dim1_half_op_CI_CI.kd
    .uniform_work_group_size: 1
    .uses_dynamic_stack: false
    .vgpr_count:     229
    .vgpr_spill_count: 0
    .wavefront_size: 32
    .workgroup_processor_mode: 1
amdhsa.target:   amdgcn-amd-amdhsa--gfx1030
amdhsa.version:
  - 1
  - 2
...

	.end_amdgpu_metadata
